;; amdgpu-corpus repo=ROCm/rocFFT kind=compiled arch=gfx906 opt=O3
	.text
	.amdgcn_target "amdgcn-amd-amdhsa--gfx906"
	.amdhsa_code_object_version 6
	.protected	fft_rtc_fwd_len1683_factors_17_3_11_3_wgs_51_tpt_51_halfLds_dp_ip_CI_sbrr_dirReg ; -- Begin function fft_rtc_fwd_len1683_factors_17_3_11_3_wgs_51_tpt_51_halfLds_dp_ip_CI_sbrr_dirReg
	.globl	fft_rtc_fwd_len1683_factors_17_3_11_3_wgs_51_tpt_51_halfLds_dp_ip_CI_sbrr_dirReg
	.p2align	8
	.type	fft_rtc_fwd_len1683_factors_17_3_11_3_wgs_51_tpt_51_halfLds_dp_ip_CI_sbrr_dirReg,@function
fft_rtc_fwd_len1683_factors_17_3_11_3_wgs_51_tpt_51_halfLds_dp_ip_CI_sbrr_dirReg: ; @fft_rtc_fwd_len1683_factors_17_3_11_3_wgs_51_tpt_51_halfLds_dp_ip_CI_sbrr_dirReg
; %bb.0:
	s_load_dwordx2 s[14:15], s[4:5], 0x18
	s_load_dwordx4 s[8:11], s[4:5], 0x0
	s_load_dwordx2 s[12:13], s[4:5], 0x50
	s_mov_b64 s[62:63], s[2:3]
	s_mov_b64 s[60:61], s[0:1]
	s_waitcnt lgkmcnt(0)
	s_load_dwordx2 s[2:3], s[14:15], 0x0
	v_mul_u32_u24_e32 v1, 0x506, v0
	v_cmp_lt_u64_e64 s[0:1], s[10:11], 2
	s_add_u32 s60, s60, s7
	v_add_u32_sdwa v5, s6, v1 dst_sel:DWORD dst_unused:UNUSED_PAD src0_sel:DWORD src1_sel:WORD_1
	v_mov_b32_e32 v3, 0
	v_mov_b32_e32 v1, 0
	s_addc_u32 s61, s61, 0
	v_mov_b32_e32 v6, v3
	s_and_b64 vcc, exec, s[0:1]
	v_mov_b32_e32 v2, 0
	s_cbranch_vccnz .LBB0_8
; %bb.1:
	s_load_dwordx2 s[0:1], s[4:5], 0x10
	s_add_u32 s6, s14, 8
	s_addc_u32 s7, s15, 0
	v_mov_b32_e32 v1, 0
	v_mov_b32_e32 v2, 0
	s_waitcnt lgkmcnt(0)
	s_add_u32 s16, s0, 8
	s_addc_u32 s17, s1, 0
	s_mov_b64 s[18:19], 1
.LBB0_2:                                ; =>This Inner Loop Header: Depth=1
	s_load_dwordx2 s[20:21], s[16:17], 0x0
                                        ; implicit-def: $vgpr7_vgpr8
	s_waitcnt lgkmcnt(0)
	v_or_b32_e32 v4, s21, v6
	v_cmp_ne_u64_e32 vcc, 0, v[3:4]
	s_and_saveexec_b64 s[0:1], vcc
	s_xor_b64 s[22:23], exec, s[0:1]
	s_cbranch_execz .LBB0_4
; %bb.3:                                ;   in Loop: Header=BB0_2 Depth=1
	v_cvt_f32_u32_e32 v4, s20
	v_cvt_f32_u32_e32 v7, s21
	s_sub_u32 s0, 0, s20
	s_subb_u32 s1, 0, s21
	v_mac_f32_e32 v4, 0x4f800000, v7
	v_rcp_f32_e32 v4, v4
	v_mul_f32_e32 v4, 0x5f7ffffc, v4
	v_mul_f32_e32 v7, 0x2f800000, v4
	v_trunc_f32_e32 v7, v7
	v_mac_f32_e32 v4, 0xcf800000, v7
	v_cvt_u32_f32_e32 v7, v7
	v_cvt_u32_f32_e32 v4, v4
	v_mul_lo_u32 v8, s0, v7
	v_mul_hi_u32 v9, s0, v4
	v_mul_lo_u32 v11, s1, v4
	v_mul_lo_u32 v10, s0, v4
	v_add_u32_e32 v8, v9, v8
	v_add_u32_e32 v8, v8, v11
	v_mul_hi_u32 v9, v4, v10
	v_mul_lo_u32 v11, v4, v8
	v_mul_hi_u32 v13, v4, v8
	v_mul_hi_u32 v12, v7, v10
	v_mul_lo_u32 v10, v7, v10
	v_mul_hi_u32 v14, v7, v8
	v_add_co_u32_e32 v9, vcc, v9, v11
	v_addc_co_u32_e32 v11, vcc, 0, v13, vcc
	v_mul_lo_u32 v8, v7, v8
	v_add_co_u32_e32 v9, vcc, v9, v10
	v_addc_co_u32_e32 v9, vcc, v11, v12, vcc
	v_addc_co_u32_e32 v10, vcc, 0, v14, vcc
	v_add_co_u32_e32 v8, vcc, v9, v8
	v_addc_co_u32_e32 v9, vcc, 0, v10, vcc
	v_add_co_u32_e32 v4, vcc, v4, v8
	v_addc_co_u32_e32 v7, vcc, v7, v9, vcc
	v_mul_lo_u32 v8, s0, v7
	v_mul_hi_u32 v9, s0, v4
	v_mul_lo_u32 v10, s1, v4
	v_mul_lo_u32 v11, s0, v4
	v_add_u32_e32 v8, v9, v8
	v_add_u32_e32 v8, v8, v10
	v_mul_lo_u32 v12, v4, v8
	v_mul_hi_u32 v13, v4, v11
	v_mul_hi_u32 v14, v4, v8
	;; [unrolled: 1-line block ×3, first 2 shown]
	v_mul_lo_u32 v11, v7, v11
	v_mul_hi_u32 v9, v7, v8
	v_add_co_u32_e32 v12, vcc, v13, v12
	v_addc_co_u32_e32 v13, vcc, 0, v14, vcc
	v_mul_lo_u32 v8, v7, v8
	v_add_co_u32_e32 v11, vcc, v12, v11
	v_addc_co_u32_e32 v10, vcc, v13, v10, vcc
	v_addc_co_u32_e32 v9, vcc, 0, v9, vcc
	v_add_co_u32_e32 v8, vcc, v10, v8
	v_addc_co_u32_e32 v9, vcc, 0, v9, vcc
	v_add_co_u32_e32 v4, vcc, v4, v8
	v_addc_co_u32_e32 v9, vcc, v7, v9, vcc
	v_mad_u64_u32 v[7:8], s[0:1], v5, v9, 0
	v_mul_hi_u32 v10, v5, v4
	v_add_co_u32_e32 v11, vcc, v10, v7
	v_addc_co_u32_e32 v12, vcc, 0, v8, vcc
	v_mad_u64_u32 v[7:8], s[0:1], v6, v4, 0
	v_mad_u64_u32 v[9:10], s[0:1], v6, v9, 0
	v_add_co_u32_e32 v4, vcc, v11, v7
	v_addc_co_u32_e32 v4, vcc, v12, v8, vcc
	v_addc_co_u32_e32 v7, vcc, 0, v10, vcc
	v_add_co_u32_e32 v4, vcc, v4, v9
	v_addc_co_u32_e32 v9, vcc, 0, v7, vcc
	v_mul_lo_u32 v10, s21, v4
	v_mul_lo_u32 v11, s20, v9
	v_mad_u64_u32 v[7:8], s[0:1], s20, v4, 0
	v_add3_u32 v8, v8, v11, v10
	v_sub_u32_e32 v10, v6, v8
	v_mov_b32_e32 v11, s21
	v_sub_co_u32_e32 v7, vcc, v5, v7
	v_subb_co_u32_e64 v10, s[0:1], v10, v11, vcc
	v_subrev_co_u32_e64 v11, s[0:1], s20, v7
	v_subbrev_co_u32_e64 v10, s[0:1], 0, v10, s[0:1]
	v_cmp_le_u32_e64 s[0:1], s21, v10
	v_cndmask_b32_e64 v12, 0, -1, s[0:1]
	v_cmp_le_u32_e64 s[0:1], s20, v11
	v_cndmask_b32_e64 v11, 0, -1, s[0:1]
	v_cmp_eq_u32_e64 s[0:1], s21, v10
	v_cndmask_b32_e64 v10, v12, v11, s[0:1]
	v_add_co_u32_e64 v11, s[0:1], 2, v4
	v_addc_co_u32_e64 v12, s[0:1], 0, v9, s[0:1]
	v_add_co_u32_e64 v13, s[0:1], 1, v4
	v_addc_co_u32_e64 v14, s[0:1], 0, v9, s[0:1]
	v_subb_co_u32_e32 v8, vcc, v6, v8, vcc
	v_cmp_ne_u32_e64 s[0:1], 0, v10
	v_cmp_le_u32_e32 vcc, s21, v8
	v_cndmask_b32_e64 v10, v14, v12, s[0:1]
	v_cndmask_b32_e64 v12, 0, -1, vcc
	v_cmp_le_u32_e32 vcc, s20, v7
	v_cndmask_b32_e64 v7, 0, -1, vcc
	v_cmp_eq_u32_e32 vcc, s21, v8
	v_cndmask_b32_e32 v7, v12, v7, vcc
	v_cmp_ne_u32_e32 vcc, 0, v7
	v_cndmask_b32_e64 v7, v13, v11, s[0:1]
	v_cndmask_b32_e32 v8, v9, v10, vcc
	v_cndmask_b32_e32 v7, v4, v7, vcc
.LBB0_4:                                ;   in Loop: Header=BB0_2 Depth=1
	s_andn2_saveexec_b64 s[0:1], s[22:23]
	s_cbranch_execz .LBB0_6
; %bb.5:                                ;   in Loop: Header=BB0_2 Depth=1
	v_cvt_f32_u32_e32 v4, s20
	s_sub_i32 s22, 0, s20
	v_rcp_iflag_f32_e32 v4, v4
	v_mul_f32_e32 v4, 0x4f7ffffe, v4
	v_cvt_u32_f32_e32 v4, v4
	v_mul_lo_u32 v7, s22, v4
	v_mul_hi_u32 v7, v4, v7
	v_add_u32_e32 v4, v4, v7
	v_mul_hi_u32 v4, v5, v4
	v_mul_lo_u32 v7, v4, s20
	v_add_u32_e32 v8, 1, v4
	v_sub_u32_e32 v7, v5, v7
	v_subrev_u32_e32 v9, s20, v7
	v_cmp_le_u32_e32 vcc, s20, v7
	v_cndmask_b32_e32 v7, v7, v9, vcc
	v_cndmask_b32_e32 v4, v4, v8, vcc
	v_add_u32_e32 v8, 1, v4
	v_cmp_le_u32_e32 vcc, s20, v7
	v_cndmask_b32_e32 v7, v4, v8, vcc
	v_mov_b32_e32 v8, v3
.LBB0_6:                                ;   in Loop: Header=BB0_2 Depth=1
	s_or_b64 exec, exec, s[0:1]
	v_mul_lo_u32 v4, v8, s20
	v_mul_lo_u32 v11, v7, s21
	v_mad_u64_u32 v[9:10], s[0:1], v7, s20, 0
	s_load_dwordx2 s[0:1], s[6:7], 0x0
	s_add_u32 s18, s18, 1
	v_add3_u32 v4, v10, v11, v4
	v_sub_co_u32_e32 v5, vcc, v5, v9
	v_subb_co_u32_e32 v4, vcc, v6, v4, vcc
	s_waitcnt lgkmcnt(0)
	v_mul_lo_u32 v4, s0, v4
	v_mul_lo_u32 v6, s1, v5
	v_mad_u64_u32 v[1:2], s[0:1], s0, v5, v[1:2]
	s_addc_u32 s19, s19, 0
	s_add_u32 s6, s6, 8
	v_add3_u32 v2, v6, v2, v4
	v_mov_b32_e32 v4, s10
	v_mov_b32_e32 v5, s11
	s_addc_u32 s7, s7, 0
	v_cmp_ge_u64_e32 vcc, s[18:19], v[4:5]
	s_add_u32 s16, s16, 8
	s_addc_u32 s17, s17, 0
	s_cbranch_vccnz .LBB0_9
; %bb.7:                                ;   in Loop: Header=BB0_2 Depth=1
	v_mov_b32_e32 v5, v7
	v_mov_b32_e32 v6, v8
	s_branch .LBB0_2
.LBB0_8:
	v_mov_b32_e32 v8, v6
	v_mov_b32_e32 v7, v5
.LBB0_9:
	s_lshl_b64 s[0:1], s[10:11], 3
	s_add_u32 s0, s14, s0
	s_addc_u32 s1, s15, s1
	s_load_dwordx2 s[6:7], s[0:1], 0x0
	s_load_dwordx2 s[10:11], s[4:5], 0x20
                                        ; implicit-def: $vgpr78_vgpr79
                                        ; implicit-def: $vgpr74_vgpr75
                                        ; implicit-def: $vgpr70_vgpr71
                                        ; implicit-def: $vgpr50_vgpr51
                                        ; implicit-def: $vgpr42_vgpr43
                                        ; implicit-def: $vgpr34_vgpr35
                                        ; implicit-def: $vgpr22_vgpr23
                                        ; implicit-def: $vgpr10_vgpr11
                                        ; implicit-def: $vgpr14_vgpr15
                                        ; implicit-def: $vgpr18_vgpr19
                                        ; implicit-def: $vgpr26_vgpr27
                                        ; implicit-def: $vgpr38_vgpr39
                                        ; implicit-def: $vgpr46_vgpr47
                                        ; implicit-def: $vgpr54_vgpr55
                                        ; implicit-def: $vgpr30_vgpr31
                                        ; implicit-def: $vgpr130_vgpr131
                                        ; implicit-def: $vgpr126_vgpr127
                                        ; implicit-def: $vgpr134_vgpr135
                                        ; implicit-def: $vgpr118_vgpr119
                                        ; implicit-def: $vgpr106_vgpr107
                                        ; implicit-def: $vgpr94_vgpr95
                                        ; implicit-def: $vgpr86_vgpr87
                                        ; implicit-def: $vgpr58_vgpr59
                                        ; implicit-def: $vgpr62_vgpr63
                                        ; implicit-def: $vgpr66_vgpr67
                                        ; implicit-def: $vgpr82_vgpr83
                                        ; implicit-def: $vgpr90_vgpr91
                                        ; implicit-def: $vgpr102_vgpr103
                                        ; implicit-def: $vgpr110_vgpr111
                                        ; implicit-def: $vgpr114_vgpr115
                                        ; implicit-def: $vgpr122_vgpr123
                                        ; implicit-def: $vgpr98_vgpr99
	s_waitcnt lgkmcnt(0)
	v_mul_lo_u32 v3, s6, v8
	v_mul_lo_u32 v4, s7, v7
	v_mad_u64_u32 v[1:2], s[0:1], s6, v7, v[1:2]
	s_mov_b32 s0, 0x5050506
	v_mul_hi_u32 v5, v0, s0
	v_add3_u32 v2, v4, v2, v3
	v_lshlrev_b64 v[1:2], 4, v[1:2]
	v_cmp_gt_u64_e32 vcc, s[10:11], v[7:8]
	v_mul_u32_u24_e32 v3, 51, v5
	buffer_store_dword v1, off, s[60:63], 0 ; 4-byte Folded Spill
	s_nop 0
	buffer_store_dword v2, off, s[60:63], 0 offset:4 ; 4-byte Folded Spill
	v_sub_u32_e32 v172, v0, v3
                                        ; implicit-def: $vgpr6_vgpr7
                                        ; implicit-def: $vgpr2_vgpr3
	s_and_saveexec_b64 s[4:5], vcc
	s_cbranch_execz .LBB0_13
; %bb.10:
	buffer_load_dword v6, off, s[60:63], 0  ; 4-byte Folded Reload
	buffer_load_dword v7, off, s[60:63], 0 offset:4 ; 4-byte Folded Reload
	v_mad_u64_u32 v[0:1], s[0:1], s2, v172, 0
	v_add_u32_e32 v5, 0x63, v172
	v_mov_b32_e32 v4, s13
	v_mad_u64_u32 v[1:2], s[0:1], s3, v172, v[1:2]
	v_mad_u64_u32 v[2:3], s[0:1], s2, v5, 0
	v_lshlrev_b64 v[0:1], 4, v[0:1]
	v_add_u32_e32 v8, 0x129, v172
                                        ; implicit-def: $vgpr28_vgpr29
                                        ; implicit-def: $vgpr52_vgpr53
                                        ; implicit-def: $vgpr44_vgpr45
                                        ; implicit-def: $vgpr36_vgpr37
                                        ; implicit-def: $vgpr24_vgpr25
                                        ; implicit-def: $vgpr16_vgpr17
                                        ; implicit-def: $vgpr12_vgpr13
                                        ; implicit-def: $vgpr20_vgpr21
                                        ; implicit-def: $vgpr32_vgpr33
                                        ; implicit-def: $vgpr40_vgpr41
                                        ; implicit-def: $vgpr48_vgpr49
                                        ; implicit-def: $vgpr68_vgpr69
                                        ; implicit-def: $vgpr72_vgpr73
                                        ; implicit-def: $vgpr76_vgpr77
	s_waitcnt vmcnt(1)
	v_add_co_u32_e64 v78, s[0:1], s12, v6
	s_waitcnt vmcnt(0)
	v_addc_co_u32_e64 v79, s[0:1], v4, v7, s[0:1]
	v_mad_u64_u32 v[3:4], s[0:1], s3, v5, v[3:4]
	v_add_co_u32_e64 v0, s[0:1], v78, v0
	v_add_u32_e32 v6, 0xc6, v172
	v_addc_co_u32_e64 v1, s[0:1], v79, v1, s[0:1]
	v_mad_u64_u32 v[4:5], s[0:1], s2, v6, 0
	v_lshlrev_b64 v[2:3], 4, v[2:3]
	v_add_co_u32_e64 v2, s[0:1], v78, v2
	v_addc_co_u32_e64 v3, s[0:1], v79, v3, s[0:1]
	v_mad_u64_u32 v[5:6], s[0:1], s3, v6, v[5:6]
	v_mad_u64_u32 v[6:7], s[0:1], s2, v8, 0
	global_load_dwordx4 v[96:99], v[0:1], off
	global_load_dwordx4 v[120:123], v[2:3], off
	v_lshlrev_b64 v[0:1], 4, v[4:5]
	v_mov_b32_e32 v2, v7
	v_mad_u64_u32 v[2:3], s[0:1], s3, v8, v[2:3]
	v_add_co_u32_e64 v0, s[0:1], v78, v0
	v_mov_b32_e32 v7, v2
	v_lshlrev_b64 v[2:3], 4, v[6:7]
	v_add_u32_e32 v6, 0x18c, v172
	v_addc_co_u32_e64 v1, s[0:1], v79, v1, s[0:1]
	v_mad_u64_u32 v[4:5], s[0:1], s2, v6, 0
	v_add_co_u32_e64 v2, s[0:1], v78, v2
	v_addc_co_u32_e64 v3, s[0:1], v79, v3, s[0:1]
	v_mad_u64_u32 v[5:6], s[0:1], s3, v6, v[5:6]
	v_add_u32_e32 v8, 0x1ef, v172
	v_mad_u64_u32 v[6:7], s[0:1], s2, v8, 0
	global_load_dwordx4 v[112:115], v[0:1], off
	global_load_dwordx4 v[108:111], v[2:3], off
	v_lshlrev_b64 v[0:1], 4, v[4:5]
	v_mov_b32_e32 v2, v7
	v_mad_u64_u32 v[2:3], s[0:1], s3, v8, v[2:3]
	v_add_co_u32_e64 v0, s[0:1], v78, v0
	v_mov_b32_e32 v7, v2
	v_lshlrev_b64 v[2:3], 4, v[6:7]
	v_add_u32_e32 v6, 0x252, v172
	v_addc_co_u32_e64 v1, s[0:1], v79, v1, s[0:1]
	v_mad_u64_u32 v[4:5], s[0:1], s2, v6, 0
	v_add_co_u32_e64 v2, s[0:1], v78, v2
	v_addc_co_u32_e64 v3, s[0:1], v79, v3, s[0:1]
	v_mad_u64_u32 v[5:6], s[0:1], s3, v6, v[5:6]
	v_add_u32_e32 v8, 0x2b5, v172
	v_mad_u64_u32 v[6:7], s[0:1], s2, v8, 0
	global_load_dwordx4 v[100:103], v[0:1], off
	global_load_dwordx4 v[88:91], v[2:3], off
	v_lshlrev_b64 v[0:1], 4, v[4:5]
	v_mov_b32_e32 v2, v7
	v_mad_u64_u32 v[2:3], s[0:1], s3, v8, v[2:3]
	v_add_co_u32_e64 v0, s[0:1], v78, v0
	v_mov_b32_e32 v7, v2
	v_lshlrev_b64 v[2:3], 4, v[6:7]
	v_add_u32_e32 v6, 0x318, v172
	v_addc_co_u32_e64 v1, s[0:1], v79, v1, s[0:1]
	v_mad_u64_u32 v[4:5], s[0:1], s2, v6, 0
	v_add_co_u32_e64 v2, s[0:1], v78, v2
	v_addc_co_u32_e64 v3, s[0:1], v79, v3, s[0:1]
	v_mad_u64_u32 v[5:6], s[0:1], s3, v6, v[5:6]
	v_add_u32_e32 v8, 0x37b, v172
	v_mad_u64_u32 v[6:7], s[0:1], s2, v8, 0
	global_load_dwordx4 v[80:83], v[0:1], off
	global_load_dwordx4 v[64:67], v[2:3], off
	v_lshlrev_b64 v[0:1], 4, v[4:5]
	v_mov_b32_e32 v2, v7
	v_mad_u64_u32 v[2:3], s[0:1], s3, v8, v[2:3]
	v_add_co_u32_e64 v0, s[0:1], v78, v0
	v_mov_b32_e32 v7, v2
	v_lshlrev_b64 v[2:3], 4, v[6:7]
	v_add_u32_e32 v6, 0x3de, v172
	v_addc_co_u32_e64 v1, s[0:1], v79, v1, s[0:1]
	v_mad_u64_u32 v[4:5], s[0:1], s2, v6, 0
	v_add_co_u32_e64 v2, s[0:1], v78, v2
	v_addc_co_u32_e64 v3, s[0:1], v79, v3, s[0:1]
	v_mad_u64_u32 v[5:6], s[0:1], s3, v6, v[5:6]
	v_add_u32_e32 v8, 0x441, v172
	v_mad_u64_u32 v[6:7], s[0:1], s2, v8, 0
	global_load_dwordx4 v[60:63], v[0:1], off
	global_load_dwordx4 v[56:59], v[2:3], off
	v_lshlrev_b64 v[0:1], 4, v[4:5]
	v_mov_b32_e32 v2, v7
	v_mad_u64_u32 v[2:3], s[0:1], s3, v8, v[2:3]
	v_add_co_u32_e64 v0, s[0:1], v78, v0
	v_mov_b32_e32 v7, v2
	v_lshlrev_b64 v[2:3], 4, v[6:7]
	v_add_u32_e32 v6, 0x4a4, v172
	v_addc_co_u32_e64 v1, s[0:1], v79, v1, s[0:1]
	v_mad_u64_u32 v[4:5], s[0:1], s2, v6, 0
	v_add_co_u32_e64 v2, s[0:1], v78, v2
	v_addc_co_u32_e64 v3, s[0:1], v79, v3, s[0:1]
	v_mad_u64_u32 v[5:6], s[0:1], s3, v6, v[5:6]
	v_add_u32_e32 v8, 0x507, v172
	v_mad_u64_u32 v[6:7], s[0:1], s2, v8, 0
	global_load_dwordx4 v[84:87], v[0:1], off
	global_load_dwordx4 v[92:95], v[2:3], off
	v_lshlrev_b64 v[0:1], 4, v[4:5]
	v_mov_b32_e32 v2, v7
	v_mad_u64_u32 v[2:3], s[0:1], s3, v8, v[2:3]
	v_add_co_u32_e64 v0, s[0:1], v78, v0
	v_mov_b32_e32 v7, v2
	v_lshlrev_b64 v[2:3], 4, v[6:7]
	v_add_u32_e32 v6, 0x56a, v172
	v_addc_co_u32_e64 v1, s[0:1], v79, v1, s[0:1]
	v_mad_u64_u32 v[4:5], s[0:1], s2, v6, 0
	v_add_co_u32_e64 v2, s[0:1], v78, v2
	v_addc_co_u32_e64 v3, s[0:1], v79, v3, s[0:1]
	v_mad_u64_u32 v[5:6], s[0:1], s3, v6, v[5:6]
	v_add_u32_e32 v8, 0x5cd, v172
	v_mad_u64_u32 v[6:7], s[0:1], s2, v8, 0
	global_load_dwordx4 v[104:107], v[0:1], off
	global_load_dwordx4 v[116:119], v[2:3], off
	v_lshlrev_b64 v[0:1], 4, v[4:5]
	v_mov_b32_e32 v2, v7
	v_mad_u64_u32 v[2:3], s[0:1], s3, v8, v[2:3]
	v_add_u32_e32 v8, 0x630, v172
	v_mad_u64_u32 v[3:4], s[0:1], s2, v8, 0
	v_add_co_u32_e64 v0, s[0:1], v78, v0
	v_mov_b32_e32 v7, v2
	v_mov_b32_e32 v2, v4
	v_addc_co_u32_e64 v1, s[0:1], v79, v1, s[0:1]
	v_lshlrev_b64 v[5:6], 4, v[6:7]
	v_mad_u64_u32 v[7:8], s[0:1], s3, v8, v[2:3]
	v_add_co_u32_e64 v4, s[0:1], v78, v5
	v_addc_co_u32_e64 v5, s[0:1], v79, v6, s[0:1]
	global_load_dwordx4 v[132:135], v[0:1], off
	global_load_dwordx4 v[124:127], v[4:5], off
	v_mov_b32_e32 v4, v7
	v_lshlrev_b64 v[0:1], 4, v[3:4]
                                        ; implicit-def: $vgpr8_vgpr9
                                        ; implicit-def: $vgpr4_vgpr5
	v_add_co_u32_e64 v0, s[0:1], v78, v0
	v_addc_co_u32_e64 v1, s[0:1], v79, v1, s[0:1]
	global_load_dwordx4 v[128:131], v[0:1], off
	v_cmp_gt_u32_e64 s[0:1], 48, v172
                                        ; implicit-def: $vgpr0_vgpr1
	s_and_saveexec_b64 s[6:7], s[0:1]
	s_cbranch_execz .LBB0_12
; %bb.11:
	v_add_u32_e32 v4, 51, v172
	v_add_u32_e32 v6, 0x96, v172
	v_mad_u64_u32 v[0:1], s[0:1], s2, v4, 0
	v_mad_u64_u32 v[2:3], s[0:1], s2, v6, 0
	v_add_u32_e32 v8, 0x15c, v172
	v_add_u32_e32 v20, 0x3ae, v172
	v_mad_u64_u32 v[4:5], s[0:1], s3, v4, v[1:2]
	v_add_u32_e32 v48, 0x53a, v172
	v_add_u32_e32 v50, 0x59d, v172
	v_mov_b32_e32 v1, v4
	v_lshlrev_b64 v[0:1], 4, v[0:1]
	v_mad_u64_u32 v[3:4], s[0:1], s3, v6, v[3:4]
	v_add_co_u32_e64 v0, s[0:1], v78, v0
	v_add_u32_e32 v6, 0xf9, v172
	v_addc_co_u32_e64 v1, s[0:1], v79, v1, s[0:1]
	v_mad_u64_u32 v[4:5], s[0:1], s2, v6, 0
	v_lshlrev_b64 v[2:3], 4, v[2:3]
	v_or_b32_e32 v72, 0x600, v172
	v_add_co_u32_e64 v2, s[0:1], v78, v2
	v_addc_co_u32_e64 v3, s[0:1], v79, v3, s[0:1]
	v_mad_u64_u32 v[5:6], s[0:1], s3, v6, v[5:6]
	v_mad_u64_u32 v[6:7], s[0:1], s2, v8, 0
	global_load_dwordx4 v[28:31], v[0:1], off
	global_load_dwordx4 v[52:55], v[2:3], off
	v_lshlrev_b64 v[0:1], 4, v[4:5]
	v_mov_b32_e32 v2, v7
	v_mad_u64_u32 v[2:3], s[0:1], s3, v8, v[2:3]
	v_add_co_u32_e64 v0, s[0:1], v78, v0
	v_mov_b32_e32 v7, v2
	v_lshlrev_b64 v[2:3], 4, v[6:7]
	v_add_u32_e32 v6, 0x1bf, v172
	v_addc_co_u32_e64 v1, s[0:1], v79, v1, s[0:1]
	v_mad_u64_u32 v[4:5], s[0:1], s2, v6, 0
	v_add_co_u32_e64 v2, s[0:1], v78, v2
	v_addc_co_u32_e64 v3, s[0:1], v79, v3, s[0:1]
	global_load_dwordx4 v[44:47], v[0:1], off
	global_load_dwordx4 v[36:39], v[2:3], off
	v_mad_u64_u32 v[5:6], s[0:1], s3, v6, v[5:6]
	v_add_u32_e32 v8, 0x222, v172
	v_mad_u64_u32 v[6:7], s[0:1], s2, v8, 0
	v_lshlrev_b64 v[0:1], 4, v[4:5]
	v_add_u32_e32 v73, 0x663, v172
	v_mov_b32_e32 v2, v7
	v_mad_u64_u32 v[2:3], s[0:1], s3, v8, v[2:3]
	v_add_co_u32_e64 v0, s[0:1], v78, v0
	v_mov_b32_e32 v7, v2
	v_lshlrev_b64 v[2:3], 4, v[6:7]
	v_add_u32_e32 v6, 0x285, v172
	v_addc_co_u32_e64 v1, s[0:1], v79, v1, s[0:1]
	v_mad_u64_u32 v[4:5], s[0:1], s2, v6, 0
	v_add_co_u32_e64 v2, s[0:1], v78, v2
	v_addc_co_u32_e64 v3, s[0:1], v79, v3, s[0:1]
	v_mad_u64_u32 v[5:6], s[0:1], s3, v6, v[5:6]
	v_add_u32_e32 v8, 0x2e8, v172
	v_mad_u64_u32 v[6:7], s[0:1], s2, v8, 0
	global_load_dwordx4 v[24:27], v[0:1], off
	global_load_dwordx4 v[16:19], v[2:3], off
	v_lshlrev_b64 v[0:1], 4, v[4:5]
	v_mov_b32_e32 v2, v7
	v_mad_u64_u32 v[2:3], s[0:1], s3, v8, v[2:3]
	v_add_co_u32_e64 v0, s[0:1], v78, v0
	v_mov_b32_e32 v7, v2
	v_lshlrev_b64 v[2:3], 4, v[6:7]
	v_add_u32_e32 v6, 0x34b, v172
	v_addc_co_u32_e64 v1, s[0:1], v79, v1, s[0:1]
	v_mad_u64_u32 v[4:5], s[0:1], s2, v6, 0
	v_add_co_u32_e64 v2, s[0:1], v78, v2
	v_addc_co_u32_e64 v3, s[0:1], v79, v3, s[0:1]
	v_mad_u64_u32 v[5:6], s[0:1], s3, v6, v[5:6]
	v_mad_u64_u32 v[6:7], s[0:1], s2, v20, 0
	global_load_dwordx4 v[12:15], v[0:1], off
	global_load_dwordx4 v[8:11], v[2:3], off
	v_lshlrev_b64 v[0:1], 4, v[4:5]
	v_mov_b32_e32 v2, v7
	v_mad_u64_u32 v[2:3], s[0:1], s3, v20, v[2:3]
	v_add_co_u32_e64 v20, s[0:1], v78, v0
	v_mov_b32_e32 v7, v2
	v_add_u32_e32 v2, 0x411, v172
	v_addc_co_u32_e64 v21, s[0:1], v79, v1, s[0:1]
	v_mad_u64_u32 v[22:23], s[0:1], s2, v2, 0
	v_lshlrev_b64 v[0:1], 4, v[6:7]
	v_add_co_u32_e64 v32, s[0:1], v78, v0
	v_mov_b32_e32 v0, v23
	v_addc_co_u32_e64 v33, s[0:1], v79, v1, s[0:1]
	v_mad_u64_u32 v[34:35], s[0:1], s3, v2, v[0:1]
	v_add_u32_e32 v35, 0x474, v172
	v_mad_u64_u32 v[40:41], s[0:1], s2, v35, 0
	v_mov_b32_e32 v23, v34
	global_load_dwordx4 v[0:3], v[20:21], off
	global_load_dwordx4 v[4:7], v[32:33], off
	v_lshlrev_b64 v[20:21], 4, v[22:23]
	v_mov_b32_e32 v22, v41
	v_mad_u64_u32 v[22:23], s[0:1], s3, v35, v[22:23]
	v_add_co_u32_e64 v20, s[0:1], v78, v20
	v_mov_b32_e32 v41, v22
	v_add_u32_e32 v34, 0x4d7, v172
	v_addc_co_u32_e64 v21, s[0:1], v79, v21, s[0:1]
	v_lshlrev_b64 v[22:23], 4, v[40:41]
	v_mad_u64_u32 v[40:41], s[0:1], s2, v34, 0
	v_add_co_u32_e64 v32, s[0:1], v78, v22
	v_mov_b32_e32 v22, v41
	v_addc_co_u32_e64 v33, s[0:1], v79, v23, s[0:1]
	v_mad_u64_u32 v[41:42], s[0:1], s3, v34, v[22:23]
	v_mad_u64_u32 v[42:43], s[0:1], s2, v48, 0
	v_lshlrev_b64 v[40:41], 4, v[40:41]
	global_load_dwordx4 v[20:23], v[20:21], off
	s_nop 0
	global_load_dwordx4 v[32:35], v[32:33], off
	s_waitcnt vmcnt(9)
	v_mad_u64_u32 v[48:49], s[0:1], s3, v48, v[43:44]
	v_add_co_u32_e64 v40, s[0:1], v78, v40
	v_addc_co_u32_e64 v41, s[0:1], v79, v41, s[0:1]
	v_mad_u64_u32 v[68:69], s[0:1], s2, v50, 0
	v_mov_b32_e32 v43, v48
	v_lshlrev_b64 v[42:43], 4, v[42:43]
	v_add_co_u32_e64 v48, s[0:1], v78, v42
	v_mov_b32_e32 v42, v69
	v_addc_co_u32_e64 v49, s[0:1], v79, v43, s[0:1]
	v_mad_u64_u32 v[69:70], s[0:1], s3, v50, v[42:43]
	v_mad_u64_u32 v[70:71], s[0:1], s2, v72, 0
	;; [unrolled: 1-line block ×3, first 2 shown]
	v_lshlrev_b64 v[68:69], 4, v[68:69]
	v_mad_u64_u32 v[71:72], s[0:1], s3, v72, v[71:72]
	v_add_co_u32_e64 v68, s[0:1], v78, v68
	v_mov_b32_e32 v72, v77
	v_addc_co_u32_e64 v69, s[0:1], v79, v69, s[0:1]
	v_mad_u64_u32 v[138:139], s[0:1], s3, v73, v[72:73]
	v_lshlrev_b64 v[70:71], 4, v[70:71]
	global_load_dwordx4 v[40:43], v[40:41], off
	s_nop 0
	global_load_dwordx4 v[48:51], v[48:49], off
	v_mov_b32_e32 v77, v138
	v_add_co_u32_e64 v72, s[0:1], v78, v70
	v_lshlrev_b64 v[76:77], 4, v[76:77]
	v_addc_co_u32_e64 v73, s[0:1], v79, v71, s[0:1]
	v_add_co_u32_e64 v76, s[0:1], v78, v76
	v_addc_co_u32_e64 v77, s[0:1], v79, v77, s[0:1]
	global_load_dwordx4 v[68:71], v[68:69], off
	s_nop 0
	global_load_dwordx4 v[72:75], v[72:73], off
	s_nop 0
	global_load_dwordx4 v[76:79], v[76:77], off
.LBB0_12:
	s_or_b64 exec, exec, s[6:7]
.LBB0_13:
	s_or_b64 exec, exec, s[4:5]
	s_waitcnt vmcnt(15)
	v_add_f64 v[138:139], v[120:121], v[96:97]
	s_waitcnt vmcnt(0)
	v_add_f64 v[140:141], v[128:129], v[120:121]
	s_mov_b32 s10, 0x370991
	s_mov_b32 s14, 0x75d4884
	;; [unrolled: 1-line block ×4, first 2 shown]
	v_add_f64 v[142:143], v[122:123], -v[130:131]
	v_add_f64 v[144:145], v[124:125], v[112:113]
	v_add_f64 v[138:139], v[112:113], v[138:139]
	v_mul_f64 v[148:149], v[140:141], s[10:11]
	v_mul_f64 v[150:151], v[140:141], s[14:15]
	s_mov_b32 s24, 0x5d8e7cdc
	s_mov_b32 s22, 0x2a9d6da3
	;; [unrolled: 1-line block ×5, first 2 shown]
	v_add_f64 v[138:139], v[108:109], v[138:139]
	s_mov_b32 s26, 0x6ed5f1bb
	s_mov_b32 s36, 0x910ea3b9
	;; [unrolled: 1-line block ×7, first 2 shown]
	v_add_f64 v[138:139], v[100:101], v[138:139]
	s_mov_b32 s5, 0x3fdc86fa
	s_mov_b32 s7, 0x3fb79ee6
	;; [unrolled: 1-line block ×7, first 2 shown]
	v_add_f64 v[138:139], v[88:89], v[138:139]
	s_mov_b32 s44, s22
	v_add_f64 v[146:147], v[114:115], -v[126:127]
	v_mul_f64 v[152:153], v[140:141], s[4:5]
	v_mul_f64 v[154:155], v[140:141], s[6:7]
	;; [unrolled: 1-line block ×5, first 2 shown]
	v_add_f64 v[138:139], v[80:81], v[138:139]
	v_mul_f64 v[140:141], v[140:141], s[40:41]
	v_mul_f64 v[162:163], v[144:145], s[14:15]
	;; [unrolled: 1-line block ×3, first 2 shown]
	v_fma_f64 v[173:174], v[142:143], s[24:25], v[148:149]
	v_fma_f64 v[148:149], v[142:143], s[34:35], v[148:149]
	;; [unrolled: 1-line block ×4, first 2 shown]
	v_add_f64 v[138:139], v[64:65], v[138:139]
	s_mov_b32 s18, 0x7c9e640b
	s_mov_b32 s16, 0xeb564b22
	s_mov_b32 s50, 0x923c349f
	s_mov_b32 s48, 0x6c9a05f6
	s_mov_b32 s54, 0x4363dd80
	s_mov_b32 s56, 0xacd6c6b4
	s_mov_b32 s19, 0x3feca52d
	v_add_f64 v[138:139], v[60:61], v[138:139]
	s_mov_b32 s53, 0xbfeca52d
	s_mov_b32 s17, 0x3fefdd0d
	s_mov_b32 s43, 0xbfefdd0d
	s_mov_b32 s51, 0x3feec746
	s_mov_b32 s29, 0xbfeec746
	s_mov_b32 s49, 0x3fe9895b
	s_mov_b32 s31, 0xbfe9895b
	;; [unrolled: 8-line block ×3, first 2 shown]
	v_add_f64 v[138:139], v[84:85], v[138:139]
	s_mov_b32 s30, s48
	s_mov_b32 s38, s54
	;; [unrolled: 1-line block ×3, first 2 shown]
	v_mul_f64 v[166:167], v[144:145], s[26:27]
	v_mul_f64 v[168:169], v[144:145], s[40:41]
	;; [unrolled: 1-line block ×3, first 2 shown]
	v_fma_f64 v[177:178], v[142:143], s[18:19], v[152:153]
	v_add_f64 v[138:139], v[92:93], v[138:139]
	v_fma_f64 v[152:153], v[142:143], s[52:53], v[152:153]
	v_fma_f64 v[179:180], v[142:143], s[16:17], v[154:155]
	;; [unrolled: 1-line block ×7, first 2 shown]
	v_add_f64 v[138:139], v[104:105], v[138:139]
	v_fma_f64 v[185:186], v[142:143], s[54:55], v[160:161]
	v_fma_f64 v[160:161], v[142:143], s[38:39], v[160:161]
	;; [unrolled: 1-line block ×7, first 2 shown]
	v_add_f64 v[138:139], v[116:117], v[138:139]
	v_fma_f64 v[164:165], v[146:147], s[42:43], v[164:165]
	v_add_f64 v[148:149], v[96:97], v[148:149]
	v_add_f64 v[150:151], v[96:97], v[150:151]
	v_fma_f64 v[191:192], v[146:147], s[48:49], v[166:167]
	v_fma_f64 v[166:167], v[146:147], s[30:31], v[166:167]
	v_add_f64 v[175:176], v[96:97], v[175:176]
	v_add_f64 v[152:153], v[96:97], v[152:153]
	;; [unrolled: 1-line block ×6, first 2 shown]
	v_fma_f64 v[162:163], v[146:147], s[56:57], v[168:169]
	v_add_f64 v[150:151], v[164:165], v[150:151]
	v_fma_f64 v[164:165], v[146:147], s[46:47], v[168:169]
	v_fma_f64 v[168:169], v[146:147], s[38:39], v[170:171]
	v_add_f64 v[138:139], v[124:125], v[138:139]
	v_add_f64 v[173:174], v[96:97], v[173:174]
	;; [unrolled: 1-line block ×14, first 2 shown]
	v_mul_f64 v[166:167], v[144:145], s[20:21]
	v_fma_f64 v[170:171], v[146:147], s[54:55], v[170:171]
	v_mul_f64 v[175:176], v[144:145], s[4:5]
	v_add_f64 v[154:155], v[164:165], v[154:155]
	v_add_f64 v[164:165], v[168:169], v[181:182]
	v_add_f64 v[168:169], v[132:133], v[108:109]
	v_add_f64 v[142:143], v[142:143], v[173:174]
	v_add_f64 v[173:174], v[191:192], v[177:178]
	v_add_f64 v[162:163], v[162:163], v[179:180]
	v_mul_f64 v[144:145], v[144:145], s[10:11]
	v_fma_f64 v[177:178], v[146:147], s[28:29], v[166:167]
	v_add_f64 v[156:157], v[170:171], v[156:157]
	v_fma_f64 v[166:167], v[146:147], s[50:51], v[166:167]
	v_fma_f64 v[170:171], v[146:147], s[52:53], v[175:176]
	v_add_f64 v[179:180], v[110:111], -v[134:135]
	v_mul_f64 v[181:182], v[168:169], s[4:5]
	v_fma_f64 v[175:176], v[146:147], s[18:19], v[175:176]
	v_fma_f64 v[189:190], v[146:147], s[34:35], v[144:145]
	v_add_f64 v[177:178], v[177:178], v[183:184]
	v_fma_f64 v[144:145], v[146:147], s[24:25], v[144:145]
	v_add_f64 v[146:147], v[166:167], v[158:159]
	v_mul_f64 v[158:159], v[168:169], s[26:27]
	v_add_f64 v[166:167], v[170:171], v[185:186]
	v_fma_f64 v[170:171], v[179:180], s[18:19], v[181:182]
	v_mul_f64 v[183:184], v[168:169], s[40:41]
	v_add_f64 v[160:161], v[175:176], v[160:161]
	v_add_f64 v[175:176], v[189:190], v[187:188]
	;; [unrolled: 1-line block ×3, first 2 shown]
	v_fma_f64 v[144:145], v[179:180], s[52:53], v[181:182]
	v_fma_f64 v[181:182], v[179:180], s[48:49], v[158:159]
	v_mul_f64 v[185:186], v[168:169], s[20:21]
	v_fma_f64 v[158:159], v[179:180], s[30:31], v[158:159]
	v_add_f64 v[142:143], v[170:171], v[142:143]
	v_mul_f64 v[170:171], v[168:169], s[14:15]
	v_fma_f64 v[187:188], v[179:180], s[46:47], v[183:184]
	v_fma_f64 v[183:184], v[179:180], s[56:57], v[183:184]
	v_add_f64 v[144:145], v[144:145], v[148:149]
	v_add_f64 v[138:139], v[181:182], v[138:139]
	v_fma_f64 v[148:149], v[179:180], s[28:29], v[185:186]
	v_add_f64 v[150:151], v[158:159], v[150:151]
	v_fma_f64 v[158:159], v[179:180], s[50:51], v[185:186]
	v_fma_f64 v[181:182], v[179:180], s[44:45], v[170:171]
	;; [unrolled: 1-line block ×3, first 2 shown]
	v_add_f64 v[152:153], v[183:184], v[152:153]
	v_mul_f64 v[183:184], v[168:169], s[10:11]
	v_add_f64 v[173:174], v[187:188], v[173:174]
	v_add_f64 v[148:149], v[148:149], v[162:163]
	v_mul_f64 v[162:163], v[168:169], s[6:7]
	v_add_f64 v[154:155], v[158:159], v[154:155]
	v_add_f64 v[158:159], v[181:182], v[164:165]
	;; [unrolled: 1-line block ×3, first 2 shown]
	v_mul_f64 v[168:169], v[168:169], s[36:37]
	v_add_f64 v[156:157], v[170:171], v[156:157]
	v_fma_f64 v[170:171], v[179:180], s[34:35], v[183:184]
	v_fma_f64 v[181:182], v[179:180], s[24:25], v[183:184]
	;; [unrolled: 1-line block ×4, first 2 shown]
	v_add_f64 v[185:186], v[102:103], -v[118:119]
	v_mul_f64 v[187:188], v[164:165], s[6:7]
	v_fma_f64 v[189:190], v[179:180], s[54:55], v[168:169]
	v_fma_f64 v[168:169], v[179:180], s[38:39], v[168:169]
	v_add_f64 v[146:147], v[170:171], v[146:147]
	v_mul_f64 v[170:171], v[164:165], s[40:41]
	v_add_f64 v[177:178], v[181:182], v[177:178]
	v_add_f64 v[166:167], v[183:184], v[166:167]
	;; [unrolled: 1-line block ×3, first 2 shown]
	v_fma_f64 v[162:163], v[185:186], s[16:17], v[187:188]
	v_mul_f64 v[179:180], v[164:165], s[20:21]
	v_add_f64 v[140:141], v[168:169], v[140:141]
	v_fma_f64 v[168:169], v[185:186], s[42:43], v[187:188]
	v_fma_f64 v[181:182], v[185:186], s[56:57], v[170:171]
	v_mul_f64 v[183:184], v[164:165], s[10:11]
	v_fma_f64 v[170:171], v[185:186], s[46:47], v[170:171]
	v_add_f64 v[175:176], v[189:190], v[175:176]
	v_add_f64 v[142:143], v[162:163], v[142:143]
	v_mul_f64 v[162:163], v[164:165], s[4:5]
	v_fma_f64 v[187:188], v[185:186], s[28:29], v[179:180]
	v_fma_f64 v[179:180], v[185:186], s[50:51], v[179:180]
	v_add_f64 v[144:145], v[168:169], v[144:145]
	v_fma_f64 v[168:169], v[185:186], s[34:35], v[183:184]
	v_add_f64 v[150:151], v[170:171], v[150:151]
	;; [unrolled: 2-line block ×3, first 2 shown]
	v_fma_f64 v[181:182], v[185:186], s[18:19], v[162:163]
	v_fma_f64 v[162:163], v[185:186], s[52:53], v[162:163]
	v_add_f64 v[152:153], v[179:180], v[152:153]
	v_mul_f64 v[179:180], v[164:165], s[36:37]
	v_add_f64 v[148:149], v[168:169], v[148:149]
	v_mul_f64 v[168:169], v[164:165], s[26:27]
	v_add_f64 v[154:155], v[170:171], v[154:155]
	v_add_f64 v[170:171], v[104:105], v[88:89]
	;; [unrolled: 1-line block ×4, first 2 shown]
	v_mul_f64 v[164:165], v[164:165], s[14:15]
	v_fma_f64 v[181:182], v[185:186], s[54:55], v[179:180]
	v_add_f64 v[156:157], v[162:163], v[156:157]
	v_fma_f64 v[162:163], v[185:186], s[38:39], v[179:180]
	v_fma_f64 v[179:180], v[185:186], s[30:31], v[168:169]
	v_fma_f64 v[168:169], v[185:186], s[48:49], v[168:169]
	v_add_f64 v[183:184], v[90:91], -v[106:107]
	v_mul_f64 v[187:188], v[170:171], s[20:21]
	v_fma_f64 v[189:190], v[185:186], s[44:45], v[164:165]
	v_fma_f64 v[164:165], v[185:186], s[22:23], v[164:165]
	v_add_f64 v[177:178], v[181:182], v[177:178]
	v_add_f64 v[146:147], v[162:163], v[146:147]
	v_mul_f64 v[162:163], v[170:171], s[36:37]
	v_add_f64 v[166:167], v[179:180], v[166:167]
	v_add_f64 v[160:161], v[168:169], v[160:161]
	v_fma_f64 v[168:169], v[183:184], s[50:51], v[187:188]
	v_mul_f64 v[179:180], v[170:171], s[14:15]
	v_add_f64 v[140:141], v[164:165], v[140:141]
	v_fma_f64 v[164:165], v[183:184], s[28:29], v[187:188]
	v_mul_f64 v[185:186], v[170:171], s[4:5]
	v_fma_f64 v[181:182], v[183:184], s[38:39], v[162:163]
	v_fma_f64 v[162:163], v[183:184], s[54:55], v[162:163]
	v_add_f64 v[175:176], v[189:190], v[175:176]
	v_add_f64 v[142:143], v[168:169], v[142:143]
	v_mul_f64 v[168:169], v[170:171], s[40:41]
	v_fma_f64 v[187:188], v[183:184], s[44:45], v[179:180]
	v_fma_f64 v[179:180], v[183:184], s[22:23], v[179:180]
	v_add_f64 v[144:145], v[164:165], v[144:145]
	v_add_f64 v[138:139], v[181:182], v[138:139]
	v_fma_f64 v[164:165], v[183:184], s[18:19], v[185:186]
	v_add_f64 v[150:151], v[162:163], v[150:151]
	v_fma_f64 v[162:163], v[183:184], s[52:53], v[185:186]
	v_fma_f64 v[181:182], v[183:184], s[56:57], v[168:169]
	;; [unrolled: 1-line block ×3, first 2 shown]
	v_add_f64 v[152:153], v[179:180], v[152:153]
	v_mul_f64 v[179:180], v[170:171], s[6:7]
	v_add_f64 v[173:174], v[187:188], v[173:174]
	v_add_f64 v[148:149], v[164:165], v[148:149]
	v_mul_f64 v[164:165], v[170:171], s[10:11]
	v_add_f64 v[154:155], v[162:163], v[154:155]
	;; [unrolled: 3-line block ×3, first 2 shown]
	v_fma_f64 v[168:169], v[183:184], s[16:17], v[179:180]
	v_add_f64 v[158:159], v[181:182], v[158:159]
	v_fma_f64 v[181:182], v[183:184], s[42:43], v[179:180]
	v_fma_f64 v[179:180], v[183:184], s[24:25], v[164:165]
	;; [unrolled: 1-line block ×3, first 2 shown]
	v_add_f64 v[185:186], v[82:83], -v[94:95]
	v_mul_f64 v[187:188], v[162:163], s[26:27]
	v_fma_f64 v[189:190], v[183:184], s[48:49], v[170:171]
	v_fma_f64 v[170:171], v[183:184], s[30:31], v[170:171]
	v_add_f64 v[146:147], v[168:169], v[146:147]
	v_mul_f64 v[168:169], v[162:163], s[20:21]
	v_add_f64 v[177:178], v[181:182], v[177:178]
	v_add_f64 v[160:161], v[164:165], v[160:161]
	v_mul_f64 v[181:182], v[162:163], s[36:37]
	v_fma_f64 v[164:165], v[185:186], s[48:49], v[187:188]
	v_add_f64 v[166:167], v[179:180], v[166:167]
	v_add_f64 v[140:141], v[170:171], v[140:141]
	v_fma_f64 v[170:171], v[185:186], s[30:31], v[187:188]
	v_fma_f64 v[183:184], v[185:186], s[28:29], v[168:169]
	;; [unrolled: 1-line block ×3, first 2 shown]
	v_mul_f64 v[179:180], v[162:163], s[10:11]
	v_add_f64 v[175:176], v[189:190], v[175:176]
	v_add_f64 v[142:143], v[164:165], v[142:143]
	v_mul_f64 v[164:165], v[162:163], s[6:7]
	s_movk_i32 s0, 0x88
	v_add_f64 v[144:145], v[170:171], v[144:145]
	v_fma_f64 v[170:171], v[185:186], s[54:55], v[181:182]
	v_add_f64 v[150:151], v[168:169], v[150:151]
	v_fma_f64 v[168:169], v[185:186], s[38:39], v[181:182]
	v_fma_f64 v[187:188], v[185:186], s[24:25], v[179:180]
	;; [unrolled: 1-line block ×5, first 2 shown]
	v_add_f64 v[138:139], v[183:184], v[138:139]
	v_add_f64 v[148:149], v[170:171], v[148:149]
	v_mul_f64 v[170:171], v[162:163], s[40:41]
	v_add_f64 v[154:155], v[168:169], v[154:155]
	v_add_f64 v[168:169], v[84:85], v[64:65]
	;; [unrolled: 1-line block ×3, first 2 shown]
	v_mul_f64 v[179:180], v[162:163], s[14:15]
	v_mul_f64 v[162:163], v[162:163], s[4:5]
	v_add_f64 v[173:174], v[187:188], v[173:174]
	v_add_f64 v[156:157], v[164:165], v[156:157]
	v_fma_f64 v[164:165], v[185:186], s[56:57], v[170:171]
	v_fma_f64 v[170:171], v[185:186], s[46:47], v[170:171]
	v_add_f64 v[183:184], v[66:67], -v[86:87]
	v_mul_f64 v[187:188], v[168:169], s[36:37]
	v_add_f64 v[158:159], v[181:182], v[158:159]
	v_fma_f64 v[181:182], v[185:186], s[22:23], v[179:180]
	v_fma_f64 v[179:180], v[185:186], s[44:45], v[179:180]
	;; [unrolled: 1-line block ×4, first 2 shown]
	v_add_f64 v[164:165], v[164:165], v[166:167]
	v_mul_f64 v[166:167], v[168:169], s[4:5]
	v_add_f64 v[160:161], v[170:171], v[160:161]
	v_fma_f64 v[170:171], v[183:184], s[54:55], v[187:188]
	v_add_f64 v[177:178], v[181:182], v[177:178]
	v_add_f64 v[146:147], v[179:180], v[146:147]
	v_mul_f64 v[179:180], v[168:169], s[6:7]
	v_fma_f64 v[181:182], v[183:184], s[38:39], v[187:188]
	v_add_f64 v[140:141], v[162:163], v[140:141]
	v_mul_f64 v[162:163], v[168:169], s[26:27]
	v_fma_f64 v[185:186], v[183:184], s[52:53], v[166:167]
	v_fma_f64 v[166:167], v[183:184], s[18:19], v[166:167]
	v_add_f64 v[142:143], v[170:171], v[142:143]
	v_mul_f64 v[170:171], v[168:169], s[10:11]
	v_fma_f64 v[187:188], v[183:184], s[16:17], v[179:180]
	v_add_f64 v[144:145], v[181:182], v[144:145]
	v_fma_f64 v[179:180], v[183:184], s[42:43], v[179:180]
	v_fma_f64 v[181:182], v[183:184], s[30:31], v[162:163]
	;; [unrolled: 1-line block ×3, first 2 shown]
	v_add_f64 v[138:139], v[185:186], v[138:139]
	v_add_f64 v[150:151], v[166:167], v[150:151]
	v_fma_f64 v[166:167], v[183:184], s[24:25], v[170:171]
	v_mul_f64 v[185:186], v[168:169], s[40:41]
	v_fma_f64 v[170:171], v[183:184], s[34:35], v[170:171]
	v_add_f64 v[152:153], v[179:180], v[152:153]
	v_mul_f64 v[179:180], v[168:169], s[14:15]
	v_add_f64 v[154:155], v[162:163], v[154:155]
	v_add_f64 v[162:163], v[56:57], v[60:61]
	;; [unrolled: 1-line block ×4, first 2 shown]
	v_fma_f64 v[166:167], v[183:184], s[56:57], v[185:186]
	v_fma_f64 v[181:182], v[183:184], s[46:47], v[185:186]
	v_mul_f64 v[168:169], v[168:169], s[20:21]
	v_add_f64 v[173:174], v[187:188], v[173:174]
	v_add_f64 v[156:157], v[170:171], v[156:157]
	v_fma_f64 v[170:171], v[183:184], s[44:45], v[179:180]
	v_fma_f64 v[179:180], v[183:184], s[22:23], v[179:180]
	v_add_f64 v[185:186], v[62:63], -v[58:59]
	v_mul_f64 v[187:188], v[162:163], s[40:41]
	v_add_f64 v[175:176], v[189:190], v[175:176]
	v_add_f64 v[166:167], v[166:167], v[177:178]
	;; [unrolled: 1-line block ×3, first 2 shown]
	v_fma_f64 v[177:178], v[183:184], s[50:51], v[168:169]
	v_mul_f64 v[181:182], v[162:163], s[10:11]
	v_add_f64 v[164:165], v[170:171], v[164:165]
	v_add_f64 v[160:161], v[179:180], v[160:161]
	v_fma_f64 v[168:169], v[183:184], s[28:29], v[168:169]
	v_fma_f64 v[170:171], v[185:186], s[56:57], v[187:188]
	v_mul_f64 v[179:180], v[162:163], s[36:37]
	v_fma_f64 v[183:184], v[185:186], s[46:47], v[187:188]
	v_add_f64 v[175:176], v[177:178], v[175:176]
	v_fma_f64 v[177:178], v[185:186], s[34:35], v[181:182]
	v_fma_f64 v[181:182], v[185:186], s[24:25], v[181:182]
	v_mul_f64 v[187:188], v[162:163], s[14:15]
	v_add_f64 v[140:141], v[168:169], v[140:141]
	v_add_f64 v[142:143], v[170:171], v[142:143]
	v_fma_f64 v[168:169], v[185:186], s[54:55], v[179:180]
	v_fma_f64 v[170:171], v[185:186], s[38:39], v[179:180]
	v_add_f64 v[144:145], v[183:184], v[144:145]
	v_add_f64 v[138:139], v[177:178], v[138:139]
	v_add_f64 v[150:151], v[181:182], v[150:151]
	v_fma_f64 v[177:178], v[185:186], s[44:45], v[187:188]
	v_mul_f64 v[181:182], v[162:163], s[26:27]
	v_fma_f64 v[179:180], v[185:186], s[22:23], v[187:188]
	v_add_f64 v[168:169], v[168:169], v[173:174]
	v_mul_f64 v[173:174], v[162:163], s[4:5]
	v_add_f64 v[152:153], v[170:171], v[152:153]
	v_mul_f64 v[170:171], v[162:163], s[20:21]
	v_mul_f64 v[162:163], v[162:163], s[6:7]
	v_add_f64 v[148:149], v[177:178], v[148:149]
	v_fma_f64 v[177:178], v[185:186], s[48:49], v[181:182]
	v_add_f64 v[154:155], v[179:180], v[154:155]
	v_fma_f64 v[179:180], v[185:186], s[30:31], v[181:182]
	v_fma_f64 v[181:182], v[185:186], s[52:53], v[173:174]
	;; [unrolled: 1-line block ×7, first 2 shown]
	v_add_f64 v[158:159], v[177:178], v[158:159]
	v_add_f64 v[156:157], v[179:180], v[156:157]
	v_add_f64 v[166:167], v[181:182], v[166:167]
	v_add_f64 v[146:147], v[173:174], v[146:147]
	v_add_f64 v[164:165], v[183:184], v[164:165]
	v_add_f64 v[174:175], v[187:188], v[175:176]
	v_add_f64 v[140:141], v[162:163], v[140:141]
	v_add_f64 v[160:161], v[170:171], v[160:161]
	v_mad_u32_u24 v173, v172, s0, 0
	v_cmp_gt_u32_e64 s[0:1], 48, v172
	ds_write2_b64 v173, v[96:97], v[142:143] offset1:1
	ds_write2_b64 v173, v[138:139], v[168:169] offset0:2 offset1:3
	ds_write2_b64 v173, v[148:149], v[158:159] offset0:4 offset1:5
	ds_write2_b64 v173, v[166:167], v[164:165] offset0:6 offset1:7
	ds_write2_b64 v173, v[174:175], v[140:141] offset0:8 offset1:9
	ds_write2_b64 v173, v[160:161], v[146:147] offset0:10 offset1:11
	ds_write2_b64 v173, v[156:157], v[154:155] offset0:12 offset1:13
	ds_write2_b64 v173, v[152:153], v[150:151] offset0:14 offset1:15
	ds_write_b64 v173, v[144:145] offset:128
	s_and_saveexec_b64 s[58:59], s[0:1]
	s_cbranch_execz .LBB0_15
; %bb.14:
	v_add_f64 v[162:163], v[54:55], -v[78:79]
	v_add_f64 v[160:161], v[46:47], -v[74:75]
	v_add_f64 v[154:155], v[76:77], v[52:53]
	v_add_f64 v[158:159], v[38:39], -v[70:71]
	v_add_f64 v[152:153], v[72:73], v[44:45]
	;; [unrolled: 2-line block ×3, first 2 shown]
	v_add_f64 v[150:151], v[18:19], -v[42:43]
	v_mul_f64 v[156:157], v[162:163], s[46:47]
	v_mul_f64 v[168:169], v[160:161], s[24:25]
	v_add_f64 v[148:149], v[14:15], -v[34:35]
	v_mul_f64 v[176:177], v[158:159], s[38:39]
	v_add_f64 v[146:147], v[40:41], v[16:17]
	v_mul_f64 v[186:187], v[166:167], s[22:23]
	v_add_f64 v[144:145], v[10:11], -v[22:23]
	v_add_f64 v[142:143], v[32:33], v[12:13]
	v_fma_f64 v[170:171], v[154:155], s[40:41], v[156:157]
	v_fma_f64 v[174:175], v[154:155], s[40:41], -v[156:157]
	v_fma_f64 v[178:179], v[152:153], s[10:11], v[168:169]
	v_fma_f64 v[168:169], v[152:153], s[10:11], -v[168:169]
	v_add_f64 v[156:157], v[48:49], v[24:25]
	v_fma_f64 v[188:189], v[164:165], s[36:37], v[176:177]
	v_fma_f64 v[176:177], v[164:165], s[36:37], -v[176:177]
	v_mul_f64 v[184:185], v[148:149], s[18:19]
	v_add_f64 v[170:171], v[28:29], v[170:171]
	v_add_f64 v[174:175], v[28:29], v[174:175]
	v_add_f64 v[140:141], v[2:3], -v[6:7]
	v_add_f64 v[138:139], v[20:21], v[8:9]
	v_fma_f64 v[194:195], v[156:157], s[14:15], v[186:187]
	v_fma_f64 v[186:187], v[156:157], s[14:15], -v[186:187]
	v_mul_f64 v[182:183], v[144:145], s[28:29]
	v_fma_f64 v[206:207], v[142:143], s[4:5], v[184:185]
	v_add_f64 v[170:171], v[178:179], v[170:171]
	v_add_f64 v[168:169], v[168:169], v[174:175]
	v_mul_f64 v[174:175], v[150:151], s[30:31]
	v_fma_f64 v[184:185], v[142:143], s[4:5], -v[184:185]
	v_add_f64 v[96:97], v[4:5], v[0:1]
	v_mul_f64 v[180:181], v[140:141], s[16:17]
	v_mul_f64 v[204:205], v[162:163], s[30:31]
	v_mul_f64 v[198:199], v[160:161], s[18:19]
	v_add_f64 v[170:171], v[188:189], v[170:171]
	v_add_f64 v[168:169], v[176:177], v[168:169]
	v_fma_f64 v[200:201], v[146:147], s[26:27], v[174:175]
	v_fma_f64 v[174:175], v[146:147], s[26:27], -v[174:175]
	v_mul_f64 v[202:203], v[160:161], s[50:51]
	v_mul_f64 v[196:197], v[158:159], s[42:43]
	v_fma_f64 v[218:219], v[154:155], s[26:27], v[204:205]
	v_fma_f64 v[204:205], v[154:155], s[26:27], -v[204:205]
	v_add_f64 v[170:171], v[194:195], v[170:171]
	v_add_f64 v[168:169], v[186:187], v[168:169]
	v_mul_f64 v[186:187], v[162:163], s[38:39]
	v_mul_f64 v[194:195], v[158:159], s[34:35]
	;; [unrolled: 1-line block ×3, first 2 shown]
	v_fma_f64 v[216:217], v[164:165], s[6:7], v[196:197]
	v_fma_f64 v[196:197], v[164:165], s[6:7], -v[196:197]
	v_mul_f64 v[176:177], v[150:151], s[34:35]
	v_add_f64 v[170:171], v[200:201], v[170:171]
	v_add_f64 v[168:169], v[174:175], v[168:169]
	v_fma_f64 v[200:201], v[138:139], s[20:21], v[182:183]
	v_fma_f64 v[182:183], v[138:139], s[20:21], -v[182:183]
	v_fma_f64 v[174:175], v[96:97], s[6:7], v[180:181]
	v_fma_f64 v[180:181], v[96:97], s[6:7], -v[180:181]
	v_fma_f64 v[212:213], v[154:155], s[36:37], v[186:187]
	v_fma_f64 v[186:187], v[154:155], s[36:37], -v[186:187]
	v_add_f64 v[170:171], v[206:207], v[170:171]
	v_add_f64 v[168:169], v[184:185], v[168:169]
	v_fma_f64 v[214:215], v[156:157], s[26:27], v[188:189]
	v_mul_f64 v[192:193], v[148:149], s[46:47]
	v_fma_f64 v[206:207], v[146:147], s[10:11], v[176:177]
	v_fma_f64 v[176:177], v[146:147], s[10:11], -v[176:177]
	v_add_f64 v[212:213], v[28:29], v[212:213]
	v_add_f64 v[186:187], v[28:29], v[186:187]
	;; [unrolled: 1-line block ×4, first 2 shown]
	v_fma_f64 v[200:201], v[152:153], s[4:5], v[198:199]
	v_fma_f64 v[198:199], v[152:153], s[4:5], -v[198:199]
	v_mul_f64 v[190:191], v[144:145], s[22:23]
	v_fma_f64 v[184:185], v[142:143], s[40:41], v[192:193]
	v_fma_f64 v[192:193], v[142:143], s[40:41], -v[192:193]
	v_mul_f64 v[178:179], v[140:141], s[28:29]
	v_add_f64 v[168:169], v[174:175], v[170:171]
	v_add_f64 v[170:171], v[180:181], v[182:183]
	v_fma_f64 v[174:175], v[152:153], s[20:21], v[202:203]
	v_add_f64 v[180:181], v[28:29], v[218:219]
	v_add_f64 v[182:183], v[200:201], v[212:213]
	;; [unrolled: 1-line block ×3, first 2 shown]
	v_fma_f64 v[198:199], v[152:153], s[20:21], -v[202:203]
	v_add_f64 v[200:201], v[28:29], v[204:205]
	v_mul_f64 v[202:203], v[166:167], s[38:39]
	v_fma_f64 v[204:205], v[164:165], s[10:11], v[194:195]
	v_fma_f64 v[210:211], v[138:139], s[14:15], v[190:191]
	v_add_f64 v[174:175], v[174:175], v[180:181]
	v_add_f64 v[180:181], v[216:217], v[182:183]
	v_fma_f64 v[182:183], v[156:157], s[26:27], -v[188:189]
	v_add_f64 v[186:187], v[196:197], v[186:187]
	v_fma_f64 v[188:189], v[164:165], s[10:11], -v[194:195]
	v_add_f64 v[194:195], v[198:199], v[200:201]
	v_mul_f64 v[196:197], v[150:151], s[16:17]
	v_fma_f64 v[198:199], v[156:157], s[36:37], v[202:203]
	v_add_f64 v[174:175], v[204:205], v[174:175]
	v_add_f64 v[180:181], v[214:215], v[180:181]
	v_fma_f64 v[208:209], v[96:97], s[20:21], v[178:179]
	v_add_f64 v[182:183], v[182:183], v[186:187]
	v_fma_f64 v[186:187], v[156:157], s[36:37], -v[202:203]
	v_add_f64 v[188:189], v[188:189], v[194:195]
	v_mul_f64 v[194:195], v[148:149], s[44:45]
	v_fma_f64 v[200:201], v[146:147], s[6:7], v[196:197]
	v_add_f64 v[174:175], v[198:199], v[174:175]
	v_add_f64 v[180:181], v[206:207], v[180:181]
	v_fma_f64 v[178:179], v[96:97], s[20:21], -v[178:179]
	v_add_f64 v[176:177], v[176:177], v[182:183]
	v_fma_f64 v[182:183], v[146:147], s[6:7], -v[196:197]
	v_add_f64 v[186:187], v[186:187], v[188:189]
	v_mul_f64 v[188:189], v[144:145], s[46:47]
	v_fma_f64 v[196:197], v[142:143], s[14:15], v[194:195]
	v_add_f64 v[174:175], v[200:201], v[174:175]
	v_add_f64 v[180:181], v[184:185], v[180:181]
	v_fma_f64 v[184:185], v[138:139], s[14:15], -v[190:191]
	v_add_f64 v[176:177], v[192:193], v[176:177]
	v_fma_f64 v[190:191], v[142:143], s[14:15], -v[194:195]
	v_add_f64 v[182:183], v[182:183], v[186:187]
	v_mul_f64 v[186:187], v[140:141], s[18:19]
	v_fma_f64 v[192:193], v[138:139], s[40:41], v[188:189]
	v_add_f64 v[174:175], v[196:197], v[174:175]
	v_mul_f64 v[194:195], v[162:163], s[28:29]
	v_add_f64 v[180:181], v[210:211], v[180:181]
	v_add_f64 v[176:177], v[184:185], v[176:177]
	v_mul_f64 v[198:199], v[162:163], s[42:43]
	v_add_f64 v[182:183], v[190:191], v[182:183]
	v_fma_f64 v[184:185], v[96:97], s[4:5], v[186:187]
	v_mul_f64 v[190:191], v[160:161], s[54:55]
	v_add_f64 v[174:175], v[192:193], v[174:175]
	v_fma_f64 v[192:193], v[154:155], s[20:21], v[194:195]
	v_fma_f64 v[194:195], v[154:155], s[20:21], -v[194:195]
	v_add_f64 v[176:177], v[178:179], v[176:177]
	v_mul_f64 v[178:179], v[158:159], s[22:23]
	v_add_f64 v[180:181], v[208:209], v[180:181]
	v_mul_f64 v[200:201], v[166:167], s[52:53]
	v_mul_f64 v[206:207], v[160:161], s[46:47]
	v_add_f64 v[174:175], v[184:185], v[174:175]
	v_fma_f64 v[184:185], v[152:153], s[36:37], v[190:191]
	v_add_f64 v[192:193], v[28:29], v[192:193]
	v_fma_f64 v[208:209], v[154:155], s[6:7], v[198:199]
	v_fma_f64 v[202:203], v[164:165], s[14:15], v[178:179]
	v_fma_f64 v[190:191], v[152:153], s[36:37], -v[190:191]
	v_add_f64 v[194:195], v[28:29], v[194:195]
	v_mul_f64 v[204:205], v[150:151], s[46:47]
	v_fma_f64 v[210:211], v[156:157], s[4:5], v[200:201]
	v_mul_f64 v[212:213], v[158:159], s[50:51]
	v_add_f64 v[184:185], v[184:185], v[192:193]
	v_fma_f64 v[214:215], v[152:153], s[40:41], v[206:207]
	v_add_f64 v[208:209], v[28:29], v[208:209]
	v_fma_f64 v[178:179], v[164:165], s[14:15], -v[178:179]
	v_add_f64 v[190:191], v[190:191], v[194:195]
	v_fma_f64 v[216:217], v[146:147], s[40:41], v[204:205]
	v_fma_f64 v[200:201], v[156:157], s[4:5], -v[200:201]
	v_fma_f64 v[218:219], v[164:165], s[20:21], v[212:213]
	v_add_f64 v[184:185], v[202:203], v[184:185]
	v_mul_f64 v[202:203], v[148:149], s[16:17]
	v_add_f64 v[208:209], v[214:215], v[208:209]
	v_fma_f64 v[198:199], v[154:155], s[6:7], -v[198:199]
	v_add_f64 v[178:179], v[178:179], v[190:191]
	v_fma_f64 v[188:189], v[138:139], s[40:41], -v[188:189]
	v_mul_f64 v[196:197], v[144:145], s[34:35]
	v_fma_f64 v[190:191], v[146:147], s[40:41], -v[204:205]
	v_add_f64 v[184:185], v[210:211], v[184:185]
	v_mul_f64 v[210:211], v[166:167], s[24:25]
	v_fma_f64 v[194:195], v[142:143], s[6:7], v[202:203]
	v_mul_f64 v[204:205], v[150:151], s[52:53]
	v_add_f64 v[208:209], v[218:219], v[208:209]
	v_fma_f64 v[206:207], v[152:153], s[40:41], -v[206:207]
	v_add_f64 v[198:199], v[28:29], v[198:199]
	v_add_f64 v[178:179], v[200:201], v[178:179]
	;; [unrolled: 1-line block ×3, first 2 shown]
	v_fma_f64 v[214:215], v[156:157], s[10:11], v[210:211]
	v_fma_f64 v[186:187], v[96:97], s[4:5], -v[186:187]
	v_add_f64 v[182:183], v[188:189], v[182:183]
	v_mul_f64 v[188:189], v[140:141], s[30:31]
	v_fma_f64 v[192:193], v[138:139], s[10:11], v[196:197]
	v_mul_f64 v[200:201], v[148:149], s[38:39]
	v_fma_f64 v[212:213], v[164:165], s[20:21], -v[212:213]
	v_add_f64 v[184:185], v[194:195], v[184:185]
	v_fma_f64 v[194:195], v[142:143], s[6:7], -v[202:203]
	v_fma_f64 v[202:203], v[146:147], s[4:5], v[204:205]
	v_add_f64 v[208:209], v[214:215], v[208:209]
	v_add_f64 v[198:199], v[206:207], v[198:199]
	v_add_f64 v[178:179], v[190:191], v[178:179]
	v_add_f64 v[182:183], v[186:187], v[182:183]
	v_fma_f64 v[186:187], v[96:97], s[26:27], v[188:189]
	v_add_f64 v[184:185], v[192:193], v[184:185]
	v_fma_f64 v[190:191], v[138:139], s[10:11], -v[196:197]
	v_mul_f64 v[192:193], v[144:145], s[48:49]
	v_fma_f64 v[196:197], v[142:143], s[36:37], v[200:201]
	v_add_f64 v[202:203], v[202:203], v[208:209]
	v_fma_f64 v[206:207], v[156:157], s[10:11], -v[210:211]
	v_add_f64 v[198:199], v[212:213], v[198:199]
	v_add_f64 v[178:179], v[194:195], v[178:179]
	v_mul_f64 v[210:211], v[162:163], s[52:53]
	v_fma_f64 v[188:189], v[96:97], s[26:27], -v[188:189]
	v_mul_f64 v[194:195], v[140:141], s[22:23]
	v_fma_f64 v[208:209], v[138:139], s[26:27], v[192:193]
	v_add_f64 v[196:197], v[196:197], v[202:203]
	v_fma_f64 v[202:203], v[146:147], s[4:5], -v[204:205]
	v_add_f64 v[198:199], v[206:207], v[198:199]
	v_add_f64 v[178:179], v[190:191], v[178:179]
	;; [unrolled: 1-line block ×3, first 2 shown]
	v_mul_f64 v[186:187], v[160:161], s[30:31]
	v_fma_f64 v[204:205], v[154:155], s[4:5], v[210:211]
	v_fma_f64 v[190:191], v[96:97], s[14:15], v[194:195]
	v_add_f64 v[196:197], v[208:209], v[196:197]
	v_fma_f64 v[200:201], v[142:143], s[36:37], -v[200:201]
	v_add_f64 v[198:199], v[202:203], v[198:199]
	v_add_f64 v[178:179], v[188:189], v[178:179]
	v_mul_f64 v[188:189], v[158:159], s[56:57]
	v_fma_f64 v[202:203], v[152:153], s[26:27], v[186:187]
	v_fma_f64 v[206:207], v[154:155], s[4:5], -v[210:211]
	v_add_f64 v[204:205], v[28:29], v[204:205]
	v_add_f64 v[190:191], v[190:191], v[196:197]
	v_fma_f64 v[186:187], v[152:153], s[26:27], -v[186:187]
	v_add_f64 v[196:197], v[200:201], v[198:199]
	v_mul_f64 v[198:199], v[166:167], s[50:51]
	v_fma_f64 v[200:201], v[164:165], s[40:41], v[188:189]
	v_fma_f64 v[192:193], v[138:139], s[26:27], -v[192:193]
	v_add_f64 v[206:207], v[28:29], v[206:207]
	v_add_f64 v[202:203], v[202:203], v[204:205]
	;; [unrolled: 1-line block ×3, first 2 shown]
	v_fma_f64 v[188:189], v[164:165], s[40:41], -v[188:189]
	v_mul_f64 v[210:211], v[162:163], s[44:45]
	v_fma_f64 v[208:209], v[156:157], s[20:21], v[198:199]
	v_fma_f64 v[198:199], v[156:157], s[20:21], -v[198:199]
	v_add_f64 v[192:193], v[192:193], v[196:197]
	v_add_f64 v[186:187], v[186:187], v[206:207]
	;; [unrolled: 1-line block ×4, first 2 shown]
	v_mul_f64 v[196:197], v[150:151], s[22:23]
	v_mul_f64 v[206:207], v[148:149], s[34:35]
	v_fma_f64 v[214:215], v[154:155], s[14:15], v[210:211]
	v_mul_f64 v[162:163], v[162:163], s[34:35]
	v_fma_f64 v[210:211], v[154:155], s[14:15], -v[210:211]
	v_add_f64 v[186:187], v[188:189], v[186:187]
	v_add_f64 v[188:189], v[208:209], v[200:201]
	;; [unrolled: 1-line block ×3, first 2 shown]
	v_fma_f64 v[212:213], v[146:147], s[14:15], v[196:197]
	v_mul_f64 v[208:209], v[160:161], s[42:43]
	v_fma_f64 v[196:197], v[146:147], s[14:15], -v[196:197]
	v_mul_f64 v[202:203], v[144:145], s[42:43]
	v_fma_f64 v[216:217], v[142:143], s[10:11], v[206:207]
	v_add_f64 v[186:187], v[198:199], v[186:187]
	v_add_f64 v[214:215], v[28:29], v[214:215]
	v_add_f64 v[198:199], v[24:25], v[200:201]
	v_add_f64 v[188:189], v[212:213], v[188:189]
	v_mul_f64 v[200:201], v[158:159], s[30:31]
	v_fma_f64 v[212:213], v[152:153], s[6:7], v[208:209]
	v_fma_f64 v[218:219], v[138:139], s[6:7], v[202:203]
	v_fma_f64 v[206:207], v[142:143], s[10:11], -v[206:207]
	v_add_f64 v[186:187], v[196:197], v[186:187]
	v_mul_f64 v[160:161], v[160:161], s[44:45]
	v_add_f64 v[196:197], v[16:17], v[198:199]
	v_add_f64 v[188:189], v[216:217], v[188:189]
	v_mul_f64 v[198:199], v[166:167], s[46:47]
	v_fma_f64 v[216:217], v[164:165], s[26:27], v[200:201]
	v_add_f64 v[212:213], v[212:213], v[214:215]
	v_fma_f64 v[224:225], v[154:155], s[10:11], -v[162:163]
	v_add_f64 v[186:187], v[206:207], v[186:187]
	v_mul_f64 v[206:207], v[150:151], s[54:55]
	v_add_f64 v[196:197], v[12:13], v[196:197]
	v_add_f64 v[188:189], v[218:219], v[188:189]
	v_fma_f64 v[218:219], v[156:157], s[40:41], v[198:199]
	v_fma_f64 v[154:155], v[154:155], s[10:11], v[162:163]
	v_add_f64 v[212:213], v[216:217], v[212:213]
	v_mul_f64 v[158:159], v[158:159], s[52:53]
	v_fma_f64 v[162:163], v[152:153], s[14:15], -v[160:161]
	v_fma_f64 v[220:221], v[146:147], s[36:37], v[206:207]
	v_add_f64 v[196:197], v[8:9], v[196:197]
	v_fma_f64 v[208:209], v[152:153], s[6:7], -v[208:209]
	v_add_f64 v[210:211], v[28:29], v[210:211]
	v_fma_f64 v[152:153], v[152:153], s[14:15], v[160:161]
	v_add_f64 v[212:213], v[218:219], v[212:213]
	v_mul_f64 v[166:167], v[166:167], s[42:43]
	v_fma_f64 v[202:203], v[138:139], s[6:7], -v[202:203]
	v_mul_f64 v[150:151], v[150:151], s[28:29]
	v_add_f64 v[196:197], v[0:1], v[196:197]
	v_mul_f64 v[216:217], v[144:145], s[18:19]
	v_mul_f64 v[144:145], v[144:145], s[38:39]
	;; [unrolled: 1-line block ×3, first 2 shown]
	v_add_f64 v[212:213], v[220:221], v[212:213]
	v_add_f64 v[220:221], v[28:29], v[224:225]
	;; [unrolled: 1-line block ×3, first 2 shown]
	v_fma_f64 v[154:155], v[164:165], s[4:5], -v[158:159]
	v_add_f64 v[196:197], v[4:5], v[196:197]
	v_fma_f64 v[158:159], v[164:165], s[4:5], v[158:159]
	v_add_f64 v[186:187], v[202:203], v[186:187]
	v_mul_f64 v[202:203], v[148:149], s[50:51]
	v_mul_f64 v[148:149], v[148:149], s[30:31]
	v_add_f64 v[160:161], v[162:163], v[220:221]
	v_add_f64 v[28:29], v[152:153], v[28:29]
	v_fma_f64 v[152:153], v[156:157], s[6:7], -v[166:167]
	v_add_f64 v[162:163], v[20:21], v[196:197]
	v_fma_f64 v[196:197], v[164:165], s[26:27], -v[200:201]
	v_add_f64 v[200:201], v[208:209], v[210:211]
	v_fma_f64 v[226:227], v[142:143], s[20:21], v[202:203]
	v_mul_f64 v[218:219], v[140:141], s[24:25]
	v_add_f64 v[154:155], v[154:155], v[160:161]
	v_add_f64 v[28:29], v[158:159], v[28:29]
	v_fma_f64 v[158:159], v[146:147], s[20:21], -v[150:151]
	v_add_f64 v[160:161], v[32:33], v[162:163]
	v_fma_f64 v[162:163], v[156:157], s[40:41], -v[198:199]
	v_add_f64 v[164:165], v[196:197], v[200:201]
	v_fma_f64 v[156:157], v[156:157], s[6:7], v[166:167]
	v_mul_f64 v[140:141], v[140:141], s[46:47]
	v_add_f64 v[152:153], v[152:153], v[154:155]
	v_fma_f64 v[222:223], v[138:139], s[4:5], v[216:217]
	v_fma_f64 v[214:215], v[96:97], s[36:37], v[204:205]
	v_add_f64 v[154:155], v[40:41], v[160:161]
	v_fma_f64 v[160:161], v[146:147], s[36:37], -v[206:207]
	v_add_f64 v[162:163], v[162:163], v[164:165]
	v_fma_f64 v[146:147], v[146:147], s[20:21], v[150:151]
	v_add_f64 v[28:29], v[156:157], v[28:29]
	v_fma_f64 v[150:151], v[142:143], s[26:27], -v[148:149]
	v_add_f64 v[152:153], v[158:159], v[152:153]
	v_fma_f64 v[156:157], v[142:143], s[20:21], -v[202:203]
	v_add_f64 v[154:155], v[48:49], v[154:155]
	v_fma_f64 v[142:143], v[142:143], s[26:27], v[148:149]
	v_add_f64 v[158:159], v[160:161], v[162:163]
	v_fma_f64 v[204:205], v[96:97], s[36:37], -v[204:205]
	v_add_f64 v[28:29], v[146:147], v[28:29]
	v_fma_f64 v[146:147], v[138:139], s[36:37], -v[144:145]
	;; [unrolled: 2-line block ×3, first 2 shown]
	v_add_f64 v[150:151], v[68:69], v[154:155]
	v_fma_f64 v[138:139], v[138:139], s[36:37], v[144:145]
	v_add_f64 v[154:155], v[156:157], v[158:159]
	v_add_f64 v[156:157], v[226:227], v[212:213]
	;; [unrolled: 1-line block ×3, first 2 shown]
	v_fma_f64 v[142:143], v[96:97], s[40:41], -v[140:141]
	v_add_f64 v[144:145], v[146:147], v[148:149]
	v_fma_f64 v[148:149], v[96:97], s[10:11], -v[218:219]
	v_add_f64 v[146:147], v[72:73], v[150:151]
	;; [unrolled: 2-line block ×3, first 2 shown]
	v_fma_f64 v[152:153], v[96:97], s[10:11], v[218:219]
	v_add_f64 v[154:155], v[222:223], v[156:157]
	v_fma_f64 v[96:97], v[96:97], s[40:41], v[140:141]
	v_add_f64 v[28:29], v[138:139], v[28:29]
	v_add_f64 v[138:139], v[142:143], v[144:145]
	;; [unrolled: 1-line block ×9, first 2 shown]
	v_add_u32_e32 v96, 0x1b18, v173
	ds_write2_b64 v96, v[140:141], v[138:139] offset1:1
	v_add_u32_e32 v96, 0x1b28, v173
	ds_write2_b64 v96, v[144:145], v[142:143] offset1:1
	;; [unrolled: 2-line block ×8, first 2 shown]
	ds_write_b64 v173, v[28:29] offset:7064
.LBB0_15:
	s_or_b64 exec, exec, s[58:59]
	v_add_f64 v[28:29], v[122:123], v[98:99]
	v_add_f64 v[96:97], v[120:121], -v[128:129]
	v_add_f64 v[120:121], v[130:131], v[122:123]
	v_add_f64 v[122:123], v[126:127], v[114:115]
	v_add_f64 v[112:113], v[112:113], -v[124:125]
	v_add_f64 v[108:109], v[108:109], -v[132:133]
	v_add_f64 v[124:125], v[134:135], v[110:111]
	v_add_f64 v[100:101], v[100:101], -v[116:117]
	v_add_f64 v[28:29], v[114:115], v[28:29]
	v_mul_f64 v[114:115], v[96:97], s[34:35]
	v_mul_f64 v[128:129], v[96:97], s[44:45]
	;; [unrolled: 1-line block ×7, first 2 shown]
	v_add_f64 v[28:29], v[110:111], v[28:29]
	v_mul_f64 v[96:97], v[96:97], s[46:47]
	v_mul_f64 v[110:111], v[112:113], s[44:45]
	;; [unrolled: 1-line block ×4, first 2 shown]
	v_fma_f64 v[168:169], v[120:121], s[10:11], v[114:115]
	v_fma_f64 v[114:115], v[120:121], s[10:11], -v[114:115]
	v_fma_f64 v[170:171], v[120:121], s[14:15], v[128:129]
	v_add_f64 v[28:29], v[102:103], v[28:29]
	v_fma_f64 v[128:129], v[120:121], s[14:15], -v[128:129]
	v_fma_f64 v[174:175], v[120:121], s[4:5], v[132:133]
	v_fma_f64 v[132:133], v[120:121], s[4:5], -v[132:133]
	v_mul_f64 v[150:151], v[112:113], s[46:47]
	v_mul_f64 v[152:153], v[112:113], s[54:55]
	;; [unrolled: 1-line block ×4, first 2 shown]
	v_add_f64 v[28:29], v[90:91], v[28:29]
	v_mul_f64 v[112:113], v[112:113], s[24:25]
	v_mul_f64 v[158:159], v[108:109], s[52:53]
	;; [unrolled: 1-line block ×4, first 2 shown]
	v_fma_f64 v[176:177], v[120:121], s[6:7], v[138:139]
	v_fma_f64 v[138:139], v[120:121], s[6:7], -v[138:139]
	v_fma_f64 v[178:179], v[120:121], s[20:21], v[140:141]
	v_add_f64 v[28:29], v[82:83], v[28:29]
	v_fma_f64 v[140:141], v[120:121], s[20:21], -v[140:141]
	v_fma_f64 v[180:181], v[120:121], s[26:27], v[142:143]
	v_fma_f64 v[142:143], v[120:121], s[26:27], -v[142:143]
	v_fma_f64 v[182:183], v[120:121], s[36:37], v[144:145]
	;; [unrolled: 2-line block ×3, first 2 shown]
	v_fma_f64 v[96:97], v[120:121], s[40:41], -v[96:97]
	v_add_f64 v[28:29], v[66:67], v[28:29]
	v_fma_f64 v[120:121], v[122:123], s[14:15], v[110:111]
	v_fma_f64 v[110:111], v[122:123], s[14:15], -v[110:111]
	v_fma_f64 v[186:187], v[122:123], s[6:7], v[146:147]
	v_fma_f64 v[146:147], v[122:123], s[6:7], -v[146:147]
	;; [unrolled: 2-line block ×3, first 2 shown]
	v_add_f64 v[168:169], v[98:99], v[168:169]
	v_add_f64 v[28:29], v[62:63], v[28:29]
	;; [unrolled: 1-line block ×7, first 2 shown]
	v_mul_f64 v[164:165], v[108:109], s[50:51]
	v_mul_f64 v[166:167], v[108:109], s[22:23]
	v_add_f64 v[28:29], v[58:59], v[28:29]
	v_fma_f64 v[190:191], v[122:123], s[40:41], v[150:151]
	v_fma_f64 v[150:151], v[122:123], s[40:41], -v[150:151]
	v_fma_f64 v[192:193], v[122:123], s[36:37], v[152:153]
	v_fma_f64 v[152:153], v[122:123], s[36:37], -v[152:153]
	;; [unrolled: 2-line block ×3, first 2 shown]
	v_fma_f64 v[196:197], v[122:123], s[4:5], v[156:157]
	v_add_f64 v[28:29], v[86:87], v[28:29]
	v_fma_f64 v[156:157], v[122:123], s[4:5], -v[156:157]
	v_fma_f64 v[198:199], v[122:123], s[10:11], v[112:113]
	v_fma_f64 v[112:113], v[122:123], s[10:11], -v[112:113]
	v_fma_f64 v[122:123], v[124:125], s[4:5], v[158:159]
	v_fma_f64 v[200:201], v[124:125], s[26:27], v[160:161]
	v_fma_f64 v[160:161], v[124:125], s[26:27], -v[160:161]
	v_fma_f64 v[202:203], v[124:125], s[40:41], v[162:163]
	v_add_f64 v[28:29], v[94:95], v[28:29]
	v_fma_f64 v[162:163], v[124:125], s[40:41], -v[162:163]
	v_add_f64 v[176:177], v[98:99], v[176:177]
	v_add_f64 v[138:139], v[98:99], v[138:139]
	;; [unrolled: 1-line block ×18, first 2 shown]
	v_fma_f64 v[204:205], v[124:125], s[20:21], v[164:165]
	v_add_f64 v[146:147], v[190:191], v[176:177]
	v_add_f64 v[140:141], v[152:153], v[140:141]
	;; [unrolled: 1-line block ×9, first 2 shown]
	v_mul_f64 v[122:123], v[108:109], s[34:35]
	v_fma_f64 v[128:129], v[124:125], s[14:15], -v[166:167]
	v_add_f64 v[28:29], v[126:127], v[28:29]
	v_fma_f64 v[158:159], v[124:125], s[4:5], -v[158:159]
	v_fma_f64 v[164:165], v[124:125], s[20:21], -v[164:165]
	v_fma_f64 v[206:207], v[124:125], s[14:15], v[166:167]
	v_add_f64 v[144:145], v[156:157], v[144:145]
	v_add_f64 v[126:127], v[198:199], v[184:185]
	v_fma_f64 v[116:117], v[124:125], s[10:11], v[122:123]
	v_add_f64 v[128:129], v[128:129], v[140:141]
	v_add_f64 v[153:154], v[130:131], v[28:29]
	;; [unrolled: 1-line block ×3, first 2 shown]
	v_mul_f64 v[132:133], v[108:109], s[42:43]
	v_mul_f64 v[108:109], v[108:109], s[38:39]
	v_add_f64 v[130:131], v[204:205], v[146:147]
	v_fma_f64 v[122:123], v[124:125], s[10:11], -v[122:123]
	v_add_f64 v[102:103], v[118:119], v[102:103]
	v_mul_f64 v[118:119], v[100:101], s[42:43]
	v_add_f64 v[148:149], v[194:195], v[180:181]
	v_add_f64 v[110:111], v[158:159], v[110:111]
	v_fma_f64 v[140:141], v[124:125], s[6:7], v[132:133]
	v_fma_f64 v[132:133], v[124:125], s[6:7], -v[132:133]
	v_fma_f64 v[146:147], v[124:125], s[36:37], v[108:109]
	v_fma_f64 v[108:109], v[124:125], s[36:37], -v[108:109]
	v_mul_f64 v[124:125], v[100:101], s[46:47]
	v_add_f64 v[122:123], v[122:123], v[142:143]
	v_fma_f64 v[142:143], v[102:103], s[6:7], v[118:119]
	v_add_f64 v[134:135], v[150:151], v[138:139]
	v_add_f64 v[138:139], v[192:193], v[178:179]
	;; [unrolled: 1-line block ×4, first 2 shown]
	v_mul_f64 v[144:145], v[100:101], s[50:51]
	v_add_f64 v[96:97], v[108:109], v[96:97]
	v_fma_f64 v[108:109], v[102:103], s[6:7], -v[118:119]
	v_fma_f64 v[118:119], v[102:103], s[40:41], v[124:125]
	v_mul_f64 v[146:147], v[100:101], s[24:25]
	v_add_f64 v[116:117], v[116:117], v[148:149]
	v_fma_f64 v[124:125], v[102:103], s[40:41], -v[124:125]
	v_add_f64 v[98:99], v[142:143], v[98:99]
	v_mul_f64 v[142:143], v[100:101], s[52:53]
	v_fma_f64 v[148:149], v[102:103], s[20:21], v[144:145]
	v_fma_f64 v[144:145], v[102:103], s[20:21], -v[144:145]
	v_add_f64 v[108:109], v[108:109], v[110:111]
	v_add_f64 v[110:111], v[118:119], v[112:113]
	v_fma_f64 v[112:113], v[102:103], s[10:11], v[146:147]
	v_add_f64 v[150:151], v[196:197], v[182:183]
	v_add_f64 v[134:135], v[164:165], v[134:135]
	;; [unrolled: 1-line block ×4, first 2 shown]
	v_fma_f64 v[118:119], v[102:103], s[10:11], -v[146:147]
	v_fma_f64 v[124:125], v[102:103], s[4:5], v[142:143]
	v_add_f64 v[28:29], v[144:145], v[28:29]
	v_mul_f64 v[144:145], v[100:101], s[38:39]
	v_fma_f64 v[142:143], v[102:103], s[4:5], -v[142:143]
	v_add_f64 v[112:113], v[112:113], v[130:131]
	v_mul_f64 v[130:131], v[100:101], s[48:49]
	v_add_f64 v[88:89], v[88:89], -v[104:105]
	v_mul_f64 v[100:101], v[100:101], s[22:23]
	v_add_f64 v[140:141], v[140:141], v[150:151]
	v_add_f64 v[118:119], v[118:119], v[134:135]
	;; [unrolled: 1-line block ×3, first 2 shown]
	v_fma_f64 v[104:105], v[102:103], s[36:37], v[144:145]
	v_add_f64 v[128:129], v[142:143], v[128:129]
	v_fma_f64 v[134:135], v[102:103], s[36:37], -v[144:145]
	v_fma_f64 v[138:139], v[102:103], s[26:27], v[130:131]
	v_fma_f64 v[130:131], v[102:103], s[26:27], -v[130:131]
	v_add_f64 v[90:91], v[106:107], v[90:91]
	v_mul_f64 v[106:107], v[88:89], s[28:29]
	v_fma_f64 v[142:143], v[102:103], s[14:15], v[100:101]
	v_fma_f64 v[100:101], v[102:103], s[14:15], -v[100:101]
	v_add_f64 v[104:105], v[104:105], v[116:117]
	v_add_f64 v[102:103], v[134:135], v[122:123]
	v_mul_f64 v[116:117], v[88:89], s[54:55]
	v_add_f64 v[122:123], v[138:139], v[140:141]
	v_add_f64 v[130:131], v[130:131], v[132:133]
	v_fma_f64 v[132:133], v[90:91], s[20:21], v[106:107]
	v_mul_f64 v[134:135], v[88:89], s[22:23]
	v_add_f64 v[96:97], v[100:101], v[96:97]
	v_fma_f64 v[100:101], v[90:91], s[20:21], -v[106:107]
	v_mul_f64 v[138:139], v[88:89], s[52:53]
	v_fma_f64 v[106:107], v[90:91], s[36:37], v[116:117]
	v_fma_f64 v[116:117], v[90:91], s[36:37], -v[116:117]
	v_add_f64 v[80:81], v[80:81], -v[92:93]
	v_add_f64 v[98:99], v[132:133], v[98:99]
	v_mul_f64 v[132:133], v[88:89], s[46:47]
	v_fma_f64 v[140:141], v[90:91], s[14:15], v[134:135]
	v_fma_f64 v[134:135], v[90:91], s[14:15], -v[134:135]
	v_add_f64 v[100:101], v[100:101], v[108:109]
	v_fma_f64 v[108:109], v[90:91], s[4:5], v[138:139]
	v_add_f64 v[106:107], v[106:107], v[110:111]
	v_add_f64 v[110:111], v[116:117], v[114:115]
	v_fma_f64 v[114:115], v[90:91], s[4:5], -v[138:139]
	v_fma_f64 v[116:117], v[90:91], s[40:41], v[132:133]
	v_fma_f64 v[132:133], v[90:91], s[40:41], -v[132:133]
	v_add_f64 v[28:29], v[134:135], v[28:29]
	v_mul_f64 v[134:135], v[88:89], s[16:17]
	v_add_f64 v[108:109], v[108:109], v[112:113]
	v_mul_f64 v[112:113], v[88:89], s[34:35]
	v_mul_f64 v[88:89], v[88:89], s[30:31]
	v_add_f64 v[126:127], v[142:143], v[126:127]
	v_add_f64 v[114:115], v[114:115], v[118:119]
	;; [unrolled: 1-line block ×4, first 2 shown]
	v_fma_f64 v[92:93], v[90:91], s[6:7], v[134:135]
	v_fma_f64 v[124:125], v[90:91], s[6:7], -v[134:135]
	v_fma_f64 v[128:129], v[90:91], s[10:11], v[112:113]
	v_add_f64 v[82:83], v[94:95], v[82:83]
	v_mul_f64 v[94:95], v[80:81], s[30:31]
	v_fma_f64 v[132:133], v[90:91], s[26:27], v[88:89]
	v_fma_f64 v[88:89], v[90:91], s[26:27], -v[88:89]
	v_fma_f64 v[112:113], v[90:91], s[10:11], -v[112:113]
	v_add_f64 v[92:93], v[92:93], v[104:105]
	v_add_f64 v[90:91], v[124:125], v[102:103]
	;; [unrolled: 1-line block ×3, first 2 shown]
	v_mul_f64 v[104:105], v[80:81], s[50:51]
	v_fma_f64 v[122:123], v[82:83], s[26:27], v[94:95]
	v_add_f64 v[124:125], v[132:133], v[126:127]
	v_mul_f64 v[126:127], v[80:81], s[34:35]
	v_add_f64 v[88:89], v[88:89], v[96:97]
	v_fma_f64 v[94:95], v[82:83], s[26:27], -v[94:95]
	v_mul_f64 v[96:97], v[80:81], s[38:39]
	v_add_f64 v[112:113], v[112:113], v[130:131]
	v_fma_f64 v[128:129], v[82:83], s[20:21], v[104:105]
	v_fma_f64 v[104:105], v[82:83], s[20:21], -v[104:105]
	v_add_f64 v[98:99], v[122:123], v[98:99]
	v_mul_f64 v[122:123], v[80:81], s[16:17]
	v_fma_f64 v[130:131], v[82:83], s[10:11], v[126:127]
	v_fma_f64 v[126:127], v[82:83], s[10:11], -v[126:127]
	v_add_f64 v[94:95], v[94:95], v[100:101]
	v_fma_f64 v[100:101], v[82:83], s[36:37], v[96:97]
	v_add_f64 v[64:65], v[64:65], -v[84:85]
	v_add_f64 v[104:105], v[104:105], v[110:111]
	v_add_f64 v[120:121], v[148:149], v[120:121]
	v_fma_f64 v[110:111], v[82:83], s[6:7], v[122:123]
	v_fma_f64 v[96:97], v[82:83], s[36:37], -v[96:97]
	v_add_f64 v[28:29], v[126:127], v[28:29]
	v_mul_f64 v[126:127], v[80:81], s[44:45]
	v_add_f64 v[100:101], v[100:101], v[108:109]
	v_fma_f64 v[108:109], v[82:83], s[6:7], -v[122:123]
	v_mul_f64 v[122:123], v[80:81], s[46:47]
	v_mul_f64 v[80:81], v[80:81], s[18:19]
	v_add_f64 v[110:111], v[110:111], v[116:117]
	v_add_f64 v[66:67], v[86:87], v[66:67]
	v_mul_f64 v[86:87], v[64:65], s[38:39]
	v_fma_f64 v[84:85], v[82:83], s[14:15], v[126:127]
	v_add_f64 v[120:121], v[140:141], v[120:121]
	v_add_f64 v[108:109], v[108:109], v[118:119]
	v_fma_f64 v[116:117], v[82:83], s[40:41], v[122:123]
	v_fma_f64 v[118:119], v[82:83], s[40:41], -v[122:123]
	v_fma_f64 v[122:123], v[82:83], s[4:5], v[80:81]
	v_fma_f64 v[80:81], v[82:83], s[4:5], -v[80:81]
	v_add_f64 v[96:97], v[96:97], v[114:115]
	v_fma_f64 v[114:115], v[82:83], s[14:15], -v[126:127]
	v_add_f64 v[84:85], v[84:85], v[92:93]
	v_mul_f64 v[92:93], v[64:65], s[18:19]
	v_add_f64 v[82:83], v[116:117], v[102:103]
	v_add_f64 v[102:103], v[118:119], v[112:113]
	v_fma_f64 v[112:113], v[66:67], s[36:37], v[86:87]
	v_mul_f64 v[116:117], v[64:65], s[42:43]
	v_fma_f64 v[86:87], v[66:67], s[36:37], -v[86:87]
	v_add_f64 v[80:81], v[80:81], v[88:89]
	v_mul_f64 v[88:89], v[64:65], s[48:49]
	v_add_f64 v[106:107], v[128:129], v[106:107]
	v_add_f64 v[120:121], v[130:131], v[120:121]
	;; [unrolled: 1-line block ×4, first 2 shown]
	v_fma_f64 v[118:119], v[66:67], s[4:5], v[92:93]
	v_fma_f64 v[92:93], v[66:67], s[4:5], -v[92:93]
	v_add_f64 v[98:99], v[112:113], v[98:99]
	v_mul_f64 v[112:113], v[64:65], s[34:35]
	v_fma_f64 v[122:123], v[66:67], s[6:7], v[116:117]
	v_add_f64 v[86:87], v[86:87], v[94:95]
	v_fma_f64 v[94:95], v[66:67], s[6:7], -v[116:117]
	v_fma_f64 v[116:117], v[66:67], s[26:27], v[88:89]
	v_add_f64 v[106:107], v[118:119], v[106:107]
	v_add_f64 v[92:93], v[92:93], v[104:105]
	v_fma_f64 v[88:89], v[66:67], s[26:27], -v[88:89]
	v_fma_f64 v[104:105], v[66:67], s[10:11], v[112:113]
	v_add_f64 v[118:119], v[122:123], v[120:121]
	v_mul_f64 v[120:121], v[64:65], s[46:47]
	v_add_f64 v[28:29], v[94:95], v[28:29]
	v_add_f64 v[94:95], v[116:117], v[100:101]
	v_fma_f64 v[100:101], v[66:67], s[10:11], -v[112:113]
	v_mul_f64 v[112:113], v[64:65], s[22:23]
	v_add_f64 v[56:57], v[60:61], -v[56:57]
	v_add_f64 v[88:89], v[88:89], v[96:97]
	v_add_f64 v[96:97], v[104:105], v[110:111]
	v_fma_f64 v[60:61], v[66:67], s[40:41], v[120:121]
	v_fma_f64 v[104:105], v[66:67], s[40:41], -v[120:121]
	v_mul_f64 v[64:65], v[64:65], s[28:29]
	v_add_f64 v[100:101], v[100:101], v[108:109]
	v_fma_f64 v[108:109], v[66:67], s[14:15], v[112:113]
	v_add_f64 v[58:59], v[58:59], v[62:63]
	v_mul_f64 v[62:63], v[56:57], s[46:47]
	v_fma_f64 v[110:111], v[66:67], s[14:15], -v[112:113]
	v_add_f64 v[60:61], v[60:61], v[84:85]
	v_add_f64 v[84:85], v[104:105], v[90:91]
	v_fma_f64 v[90:91], v[66:67], s[20:21], v[64:65]
	v_fma_f64 v[64:65], v[66:67], s[20:21], -v[64:65]
	v_add_f64 v[82:83], v[108:109], v[82:83]
	v_mul_f64 v[108:109], v[56:57], s[38:39]
	v_fma_f64 v[66:67], v[58:59], s[40:41], v[62:63]
	v_fma_f64 v[62:63], v[58:59], s[40:41], -v[62:63]
	v_mul_f64 v[104:105], v[56:57], s[24:25]
	v_mul_f64 v[112:113], v[56:57], s[22:23]
	v_add_f64 v[102:103], v[110:111], v[102:103]
	v_add_f64 v[64:65], v[64:65], v[80:81]
	v_add_f64 v[90:91], v[90:91], v[114:115]
	s_waitcnt lgkmcnt(0)
	v_add_f64 v[134:135], v[66:67], v[98:99]
	v_add_f64 v[138:139], v[62:63], v[86:87]
	v_fma_f64 v[62:63], v[58:59], s[36:37], -v[108:109]
	v_fma_f64 v[110:111], v[58:59], s[10:11], v[104:105]
	v_fma_f64 v[104:105], v[58:59], s[10:11], -v[104:105]
	v_fma_f64 v[66:67], v[58:59], s[36:37], v[108:109]
	;; [unrolled: 2-line block ×3, first 2 shown]
	; wave barrier
	v_add_u32_e32 v132, 51, v172
	v_add_f64 v[157:158], v[62:63], v[28:29]
	v_mul_f64 v[28:29], v[56:57], s[28:29]
	v_add_f64 v[142:143], v[104:105], v[92:93]
	v_mul_f64 v[92:93], v[56:57], s[30:31]
	;; [unrolled: 2-line block ×3, first 2 shown]
	v_mul_f64 v[56:57], v[56:57], s[16:17]
	v_add_f64 v[161:162], v[86:87], v[88:89]
	v_add_f64 v[159:160], v[80:81], v[94:95]
	v_fma_f64 v[88:89], v[58:59], s[20:21], v[28:29]
	v_fma_f64 v[28:29], v[58:59], s[20:21], -v[28:29]
	v_fma_f64 v[62:63], v[58:59], s[26:27], v[92:93]
	v_fma_f64 v[80:81], v[58:59], s[26:27], -v[92:93]
	;; [unrolled: 2-line block ×4, first 2 shown]
	v_add_f64 v[174:175], v[88:89], v[82:83]
	v_add_f64 v[176:177], v[28:29], v[102:103]
	v_lshlrev_b32_e32 v28, 7, v172
	v_sub_u32_e32 v133, v173, v28
	v_add_u32_e32 v145, 0xc00, v133
	v_add_u32_e32 v150, 0x2000, v133
	;; [unrolled: 1-line block ×3, first 2 shown]
	v_add_f64 v[165:166], v[80:81], v[100:101]
	v_add_f64 v[167:168], v[86:87], v[60:61]
	;; [unrolled: 1-line block ×5, first 2 shown]
	ds_read2_b64 v[88:91], v133 offset1:51
	ds_read2_b64 v[56:59], v145 offset0:126 offset1:177
	ds_read2_b64 v[128:131], v150 offset0:98 offset1:149
	;; [unrolled: 1-line block ×7, first 2 shown]
	v_add_u32_e32 v151, 0x2800, v133
	v_add_u32_e32 v147, 0x1800, v133
	;; [unrolled: 1-line block ×3, first 2 shown]
	v_add_f64 v[140:141], v[110:111], v[106:107]
	v_add_f64 v[163:164], v[62:63], v[96:97]
	ds_read2_b64 v[112:115], v151 offset0:46 offset1:97
	ds_read2_b64 v[108:111], v147 offset0:48 offset1:99
	;; [unrolled: 1-line block ×6, first 2 shown]
	v_add_u32_e32 v152, 0x2c00, v133
	v_add_u32_e32 v149, 0x1c00, v133
	ds_read2_b64 v[96:99], v152 offset0:122 offset1:173
	ds_read2_b64 v[92:95], v149 offset0:124 offset1:175
	ds_read_b64 v[28:29], v133 offset:13056
	s_waitcnt lgkmcnt(0)
	; wave barrier
	s_waitcnt lgkmcnt(0)
	ds_write2_b64 v173, v[153:154], v[134:135] offset1:1
	ds_write2_b64 v173, v[140:141], v[155:156] offset0:2 offset1:3
	ds_write2_b64 v173, v[159:160], v[163:164] offset0:4 offset1:5
	;; [unrolled: 1-line block ×7, first 2 shown]
	ds_write_b64 v173, v[138:139] offset:128
	s_and_saveexec_b64 s[4:5], s[0:1]
	s_cbranch_execz .LBB0_17
; %bb.16:
	v_add_f64 v[134:135], v[54:55], v[30:31]
	v_add_f64 v[52:53], v[52:53], -v[76:77]
	v_add_f64 v[44:45], v[44:45], -v[72:73]
	s_mov_b32 s42, 0x7c9e640b
	s_mov_b32 s43, 0xbfeca52d
	v_add_f64 v[54:55], v[78:79], v[54:55]
	s_mov_b32 s24, 0x5d8e7cdc
	s_mov_b32 s40, 0x2a9d6da3
	v_add_f64 v[76:77], v[46:47], v[134:135]
	v_mul_f64 v[138:139], v[52:53], s[42:43]
	s_mov_b32 s0, 0x2b2883cd
	s_mov_b32 s36, 0xeb564b22
	;; [unrolled: 1-line block ×6, first 2 shown]
	v_add_f64 v[76:77], v[38:39], v[76:77]
	s_mov_b32 s25, 0xbfd71e95
	s_mov_b32 s41, 0xbfe58eea
	s_mov_b32 s1, 0x3fdc86fa
	s_mov_b32 s37, 0xbfefdd0d
	s_mov_b32 s19, 0xbfeec746
	s_mov_b32 s23, 0xbfe9895b
	s_mov_b32 s29, 0xbfe0d888
	v_add_f64 v[76:77], v[26:27], v[76:77]
	s_mov_b32 s39, 0xbfc7851a
	v_add_f64 v[46:47], v[74:75], v[46:47]
	v_mul_f64 v[134:135], v[52:53], s[40:41]
	v_mul_f64 v[140:141], v[52:53], s[36:37]
	;; [unrolled: 1-line block ×5, first 2 shown]
	v_add_f64 v[76:77], v[18:19], v[76:77]
	v_mul_f64 v[161:162], v[44:45], s[22:23]
	v_fma_f64 v[177:178], v[54:55], s[0:1], v[138:139]
	v_fma_f64 v[138:139], v[54:55], s[0:1], -v[138:139]
	s_mov_b32 s16, 0x370991
	s_mov_b32 s10, 0x75d4884
	;; [unrolled: 1-line block ×4, first 2 shown]
	v_add_f64 v[76:77], v[14:15], v[76:77]
	s_mov_b32 s26, 0x910ea3b9
	s_mov_b32 s30, 0x7faef3
	;; [unrolled: 1-line block ×7, first 2 shown]
	v_add_f64 v[72:73], v[10:11], v[76:77]
	v_mul_f64 v[76:77], v[52:53], s[24:25]
	v_mul_f64 v[52:53], v[52:53], s[38:39]
	s_mov_b32 s31, 0xbfef7484
	s_mov_b32 s49, 0x3feec746
	;; [unrolled: 1-line block ×3, first 2 shown]
	v_mul_f64 v[157:158], v[44:45], s[40:41]
	v_mul_f64 v[159:160], v[44:45], s[36:37]
	v_add_f64 v[72:73], v[2:3], v[72:73]
	v_mul_f64 v[163:164], v[44:45], s[38:39]
	v_mul_f64 v[167:168], v[44:45], s[48:49]
	v_fma_f64 v[173:174], v[54:55], s[16:17], v[76:77]
	v_fma_f64 v[76:77], v[54:55], s[16:17], -v[76:77]
	v_fma_f64 v[175:176], v[54:55], s[10:11], v[134:135]
	v_fma_f64 v[134:135], v[54:55], s[10:11], -v[134:135]
	v_fma_f64 v[179:180], v[54:55], s[6:7], v[140:141]
	v_add_f64 v[72:73], v[6:7], v[72:73]
	v_fma_f64 v[140:141], v[54:55], s[6:7], -v[140:141]
	v_fma_f64 v[181:182], v[54:55], s[14:15], v[142:143]
	v_fma_f64 v[142:143], v[54:55], s[14:15], -v[142:143]
	v_fma_f64 v[183:184], v[54:55], s[20:21], v[153:154]
	;; [unrolled: 2-line block ×3, first 2 shown]
	v_fma_f64 v[155:156], v[54:55], s[26:27], -v[155:156]
	v_add_f64 v[72:73], v[22:23], v[72:73]
	v_fma_f64 v[187:188], v[54:55], s[30:31], v[52:53]
	v_fma_f64 v[52:53], v[54:55], s[30:31], -v[52:53]
	v_fma_f64 v[191:192], v[46:47], s[20:21], v[161:162]
	v_fma_f64 v[161:162], v[46:47], s[20:21], -v[161:162]
	v_add_f64 v[138:139], v[30:31], v[138:139]
	s_mov_b32 s51, 0x3fe0d888
	s_mov_b32 s35, 0x3feca52d
	v_add_f64 v[72:73], v[34:35], v[72:73]
	s_mov_b32 s50, s28
	s_mov_b32 s34, s42
	;; [unrolled: 1-line block ×4, first 2 shown]
	v_mul_f64 v[165:166], v[44:45], s[50:51]
	v_mul_f64 v[169:170], v[44:45], s[34:35]
	v_fma_f64 v[54:55], v[46:47], s[10:11], v[157:158]
	v_add_f64 v[72:73], v[42:43], v[72:73]
	v_fma_f64 v[157:158], v[46:47], s[10:11], -v[157:158]
	v_fma_f64 v[189:190], v[46:47], s[6:7], v[159:160]
	v_fma_f64 v[159:160], v[46:47], s[6:7], -v[159:160]
	v_fma_f64 v[193:194], v[46:47], s[30:31], v[163:164]
	v_fma_f64 v[163:164], v[46:47], s[30:31], -v[163:164]
	v_add_f64 v[173:174], v[30:31], v[173:174]
	v_add_f64 v[76:77], v[30:31], v[76:77]
	v_add_f64 v[72:73], v[50:51], v[72:73]
	v_add_f64 v[175:176], v[30:31], v[175:176]
	v_add_f64 v[134:135], v[30:31], v[134:135]
	v_add_f64 v[177:178], v[30:31], v[177:178]
	v_add_f64 v[179:180], v[30:31], v[179:180]
	v_add_f64 v[140:141], v[30:31], v[140:141]
	v_add_f64 v[181:182], v[30:31], v[181:182]
	v_add_f64 v[142:143], v[30:31], v[142:143]
	v_add_f64 v[72:73], v[70:71], v[72:73]
	v_add_f64 v[183:184], v[30:31], v[183:184]
	v_add_f64 v[153:154], v[30:31], v[153:154]
	v_add_f64 v[185:186], v[30:31], v[185:186]
	v_add_f64 v[155:156], v[30:31], v[155:156]
	v_add_f64 v[187:188], v[30:31], v[187:188]
	v_add_f64 v[52:53], v[30:31], v[52:53]
	v_add_f64 v[138:139], v[161:162], v[138:139]
	v_add_f64 v[30:31], v[74:75], v[72:73]
	v_add_f64 v[36:37], v[36:37], -v[68:69]
	v_fma_f64 v[161:162], v[46:47], s[14:15], -v[167:168]
	v_mul_f64 v[44:45], v[44:45], s[44:45]
	v_fma_f64 v[195:196], v[46:47], s[26:27], v[165:166]
	v_add_f64 v[72:73], v[157:158], v[76:77]
	v_add_f64 v[76:77], v[159:160], v[134:135]
	v_fma_f64 v[159:160], v[46:47], s[26:27], -v[165:166]
	v_add_f64 v[30:31], v[78:79], v[30:31]
	v_add_f64 v[78:79], v[163:164], v[140:141]
	v_fma_f64 v[163:164], v[46:47], s[0:1], v[169:170]
	v_add_f64 v[38:39], v[70:71], v[38:39]
	v_mul_f64 v[70:71], v[36:37], s[42:43]
	v_fma_f64 v[165:166], v[46:47], s[0:1], -v[169:170]
	v_add_f64 v[153:154], v[161:162], v[153:154]
	v_fma_f64 v[161:162], v[46:47], s[16:17], v[44:45]
	v_fma_f64 v[44:45], v[46:47], s[16:17], -v[44:45]
	s_mov_b32 s47, 0x3fc7851a
	s_mov_b32 s46, s38
	v_add_f64 v[54:55], v[54:55], v[173:174]
	v_fma_f64 v[68:69], v[46:47], s[14:15], v[167:168]
	v_add_f64 v[142:143], v[159:160], v[142:143]
	v_add_f64 v[159:160], v[163:164], v[185:186]
	v_fma_f64 v[46:47], v[38:39], s[0:1], v[70:71]
	v_add_f64 v[155:156], v[165:166], v[155:156]
	v_mul_f64 v[163:164], v[36:37], s[22:23]
	v_mul_f64 v[165:166], v[36:37], s[46:47]
	v_add_f64 v[44:45], v[44:45], v[52:53]
	v_fma_f64 v[52:53], v[38:39], s[0:1], -v[70:71]
	v_mul_f64 v[70:71], v[36:37], s[48:49]
	s_mov_b32 s47, 0x3fe58eea
	s_mov_b32 s46, s40
	v_add_f64 v[74:75], v[189:190], v[175:176]
	v_add_f64 v[134:135], v[191:192], v[177:178]
	v_add_f64 v[157:158], v[193:194], v[179:180]
	v_add_f64 v[46:47], v[46:47], v[54:55]
	v_fma_f64 v[54:55], v[38:39], s[20:21], v[163:164]
	v_fma_f64 v[163:164], v[38:39], s[20:21], -v[163:164]
	v_fma_f64 v[167:168], v[38:39], s[30:31], v[165:166]
	v_mul_f64 v[169:170], v[36:37], s[46:47]
	v_add_f64 v[52:53], v[52:53], v[72:73]
	v_fma_f64 v[72:73], v[38:39], s[30:31], -v[165:166]
	v_fma_f64 v[165:166], v[38:39], s[14:15], v[70:71]
	v_add_f64 v[140:141], v[195:196], v[181:182]
	v_add_f64 v[54:55], v[54:55], v[74:75]
	;; [unrolled: 1-line block ×3, first 2 shown]
	v_fma_f64 v[70:71], v[38:39], s[14:15], -v[70:71]
	v_add_f64 v[76:77], v[167:168], v[134:135]
	v_fma_f64 v[134:135], v[38:39], s[10:11], v[169:170]
	v_mul_f64 v[163:164], v[36:37], s[24:25]
	v_add_f64 v[72:73], v[72:73], v[138:139]
	v_add_f64 v[138:139], v[165:166], v[157:158]
	v_mul_f64 v[157:158], v[36:37], s[36:37]
	v_add_f64 v[24:25], v[24:25], -v[48:49]
	v_add_f64 v[68:69], v[68:69], v[183:184]
	v_add_f64 v[70:71], v[70:71], v[78:79]
	v_add_f64 v[48:49], v[134:135], v[140:141]
	v_fma_f64 v[78:79], v[38:39], s[16:17], v[163:164]
	v_mul_f64 v[36:37], v[36:37], s[28:29]
	v_fma_f64 v[134:135], v[38:39], s[16:17], -v[163:164]
	v_fma_f64 v[140:141], v[38:39], s[6:7], v[157:158]
	v_add_f64 v[26:27], v[50:51], v[26:27]
	v_mul_f64 v[50:51], v[24:25], s[36:37]
	v_fma_f64 v[157:158], v[38:39], s[6:7], -v[157:158]
	v_add_f64 v[161:162], v[161:162], v[187:188]
	v_fma_f64 v[165:166], v[38:39], s[10:11], -v[169:170]
	v_add_f64 v[68:69], v[78:79], v[68:69]
	v_fma_f64 v[78:79], v[38:39], s[26:27], v[36:37]
	v_add_f64 v[134:135], v[134:135], v[153:154]
	v_fma_f64 v[36:37], v[38:39], s[26:27], -v[36:37]
	v_mul_f64 v[38:39], v[24:25], s[38:39]
	v_fma_f64 v[153:154], v[26:27], s[6:7], v[50:51]
	v_add_f64 v[155:156], v[157:158], v[155:156]
	v_mul_f64 v[157:158], v[24:25], s[48:49]
	v_add_f64 v[140:141], v[140:141], v[159:160]
	v_add_f64 v[78:79], v[78:79], v[161:162]
	v_fma_f64 v[50:51], v[26:27], s[6:7], -v[50:51]
	v_mul_f64 v[159:160], v[24:25], s[44:45]
	v_add_f64 v[36:37], v[36:37], v[44:45]
	v_fma_f64 v[44:45], v[26:27], s[30:31], v[38:39]
	v_add_f64 v[46:47], v[153:154], v[46:47]
	v_fma_f64 v[38:39], v[26:27], s[30:31], -v[38:39]
	v_fma_f64 v[153:154], v[26:27], s[14:15], v[157:158]
	v_mul_f64 v[161:162], v[24:25], s[42:43]
	s_mov_b32 s53, 0x3fe9895b
	s_mov_b32 s52, s22
	v_add_f64 v[142:143], v[165:166], v[142:143]
	v_fma_f64 v[157:158], v[26:27], s[14:15], -v[157:158]
	v_add_f64 v[50:51], v[50:51], v[52:53]
	v_fma_f64 v[52:53], v[26:27], s[16:17], v[159:160]
	v_add_f64 v[44:45], v[44:45], v[54:55]
	v_mul_f64 v[54:55], v[24:25], s[28:29]
	v_add_f64 v[38:39], v[38:39], v[74:75]
	v_add_f64 v[74:75], v[153:154], v[76:77]
	v_fma_f64 v[76:77], v[26:27], s[16:17], -v[159:160]
	v_fma_f64 v[153:154], v[26:27], s[0:1], -v[161:162]
	v_mul_f64 v[159:160], v[24:25], s[52:53]
	v_mul_f64 v[24:25], v[24:25], s[46:47]
	v_add_f64 v[16:17], v[16:17], -v[40:41]
	v_add_f64 v[72:73], v[157:158], v[72:73]
	v_add_f64 v[52:53], v[52:53], v[138:139]
	v_fma_f64 v[138:139], v[26:27], s[0:1], v[161:162]
	v_fma_f64 v[157:158], v[26:27], s[26:27], v[54:55]
	v_add_f64 v[40:41], v[153:154], v[142:143]
	v_fma_f64 v[54:55], v[26:27], s[26:27], -v[54:55]
	v_fma_f64 v[142:143], v[26:27], s[10:11], v[24:25]
	v_add_f64 v[18:19], v[42:43], v[18:19]
	v_mul_f64 v[42:43], v[16:17], s[18:19]
	v_fma_f64 v[24:25], v[26:27], s[10:11], -v[24:25]
	v_add_f64 v[70:71], v[76:77], v[70:71]
	v_fma_f64 v[76:77], v[26:27], s[20:21], v[159:160]
	v_add_f64 v[48:49], v[138:139], v[48:49]
	v_fma_f64 v[138:139], v[26:27], s[20:21], -v[159:160]
	v_add_f64 v[26:27], v[54:55], v[134:135]
	v_mul_f64 v[54:55], v[16:17], s[50:51]
	v_mul_f64 v[134:135], v[16:17], s[46:47]
	v_add_f64 v[24:25], v[24:25], v[36:37]
	v_fma_f64 v[36:37], v[18:19], s[14:15], -v[42:43]
	v_mul_f64 v[153:154], v[16:17], s[42:43]
	v_add_f64 v[76:77], v[76:77], v[140:141]
	v_fma_f64 v[140:141], v[18:19], s[14:15], v[42:43]
	v_add_f64 v[78:79], v[142:143], v[78:79]
	v_fma_f64 v[42:43], v[18:19], s[26:27], v[54:55]
	v_fma_f64 v[54:55], v[18:19], s[26:27], -v[54:55]
	v_fma_f64 v[142:143], v[18:19], s[10:11], v[134:135]
	v_fma_f64 v[134:135], v[18:19], s[10:11], -v[134:135]
	v_add_f64 v[36:37], v[36:37], v[50:51]
	v_fma_f64 v[50:51], v[18:19], s[0:1], v[153:154]
	v_add_f64 v[46:47], v[140:141], v[46:47]
	v_mul_f64 v[140:141], v[16:17], s[38:39]
	s_mov_b32 s43, 0x3fefdd0d
	s_mov_b32 s42, s36
	v_add_f64 v[38:39], v[54:55], v[38:39]
	v_add_f64 v[54:55], v[134:135], v[72:73]
	v_fma_f64 v[72:73], v[18:19], s[0:1], -v[153:154]
	v_mul_f64 v[134:135], v[16:17], s[42:43]
	v_add_f64 v[50:51], v[50:51], v[52:53]
	v_mul_f64 v[52:53], v[16:17], s[24:25]
	v_add_f64 v[12:13], v[12:13], -v[32:33]
	v_mul_f64 v[16:17], v[16:17], s[22:23]
	v_add_f64 v[42:43], v[42:43], v[44:45]
	v_add_f64 v[44:45], v[142:143], v[74:75]
	v_fma_f64 v[74:75], v[18:19], s[30:31], v[140:141]
	v_add_f64 v[68:69], v[157:158], v[68:69]
	v_add_f64 v[70:71], v[72:73], v[70:71]
	v_fma_f64 v[32:33], v[18:19], s[6:7], v[134:135]
	v_fma_f64 v[72:73], v[18:19], s[6:7], -v[134:135]
	v_add_f64 v[14:15], v[34:35], v[14:15]
	v_mul_f64 v[34:35], v[12:13], s[22:23]
	v_fma_f64 v[134:135], v[18:19], s[20:21], v[16:17]
	v_fma_f64 v[16:17], v[18:19], s[20:21], -v[16:17]
	v_add_f64 v[48:49], v[74:75], v[48:49]
	v_fma_f64 v[74:75], v[18:19], s[16:17], v[52:53]
	v_fma_f64 v[140:141], v[18:19], s[30:31], -v[140:141]
	v_fma_f64 v[52:53], v[18:19], s[16:17], -v[52:53]
	v_add_f64 v[32:33], v[32:33], v[68:69]
	v_add_f64 v[18:19], v[72:73], v[26:27]
	v_mul_f64 v[68:69], v[12:13], s[48:49]
	v_fma_f64 v[72:73], v[14:15], s[20:21], v[34:35]
	v_add_f64 v[16:17], v[16:17], v[24:25]
	v_fma_f64 v[24:25], v[14:15], s[20:21], -v[34:35]
	v_mul_f64 v[34:35], v[12:13], s[28:29]
	v_add_f64 v[26:27], v[74:75], v[76:77]
	v_mul_f64 v[76:77], v[12:13], s[24:25]
	v_add_f64 v[74:75], v[134:135], v[78:79]
	v_fma_f64 v[78:79], v[14:15], s[14:15], v[68:69]
	v_fma_f64 v[68:69], v[14:15], s[14:15], -v[68:69]
	v_add_f64 v[46:47], v[72:73], v[46:47]
	v_mul_f64 v[72:73], v[12:13], s[42:43]
	v_add_f64 v[24:25], v[24:25], v[36:37]
	v_fma_f64 v[36:37], v[14:15], s[26:27], v[34:35]
	v_fma_f64 v[134:135], v[14:15], s[16:17], v[76:77]
	v_fma_f64 v[76:77], v[14:15], s[16:17], -v[76:77]
	v_add_f64 v[40:41], v[140:141], v[40:41]
	v_add_f64 v[38:39], v[68:69], v[38:39]
	v_add_f64 v[8:9], v[8:9], -v[20:21]
	v_fma_f64 v[68:69], v[14:15], s[6:7], v[72:73]
	v_add_f64 v[138:139], v[138:139], v[155:156]
	v_add_f64 v[36:37], v[36:37], v[50:51]
	v_fma_f64 v[50:51], v[14:15], s[6:7], -v[72:73]
	v_mul_f64 v[72:73], v[12:13], s[38:39]
	v_add_f64 v[54:55], v[76:77], v[54:55]
	v_mul_f64 v[76:77], v[12:13], s[40:41]
	v_fma_f64 v[34:35], v[14:15], s[26:27], -v[34:35]
	v_mul_f64 v[12:13], v[12:13], s[34:35]
	v_add_f64 v[10:11], v[22:23], v[10:11]
	v_mul_f64 v[22:23], v[8:9], s[28:29]
	v_add_f64 v[40:41], v[50:51], v[40:41]
	v_fma_f64 v[50:51], v[14:15], s[30:31], v[72:73]
	v_add_f64 v[48:49], v[68:69], v[48:49]
	v_fma_f64 v[68:69], v[14:15], s[10:11], -v[76:77]
	v_add_f64 v[52:53], v[52:53], v[138:139]
	v_add_f64 v[34:35], v[34:35], v[70:71]
	v_fma_f64 v[20:21], v[14:15], s[10:11], v[76:77]
	v_fma_f64 v[70:71], v[14:15], s[30:31], -v[72:73]
	v_fma_f64 v[72:73], v[14:15], s[0:1], v[12:13]
	v_fma_f64 v[12:13], v[14:15], s[0:1], -v[12:13]
	v_add_f64 v[14:15], v[50:51], v[26:27]
	v_mul_f64 v[26:27], v[8:9], s[34:35]
	v_fma_f64 v[50:51], v[10:11], s[26:27], v[22:23]
	v_add_f64 v[18:19], v[68:69], v[18:19]
	v_mul_f64 v[68:69], v[8:9], s[36:37]
	v_fma_f64 v[22:23], v[10:11], s[26:27], -v[22:23]
	v_add_f64 v[42:43], v[78:79], v[42:43]
	v_add_f64 v[20:21], v[20:21], v[32:33]
	;; [unrolled: 1-line block ×4, first 2 shown]
	v_mul_f64 v[16:17], v[8:9], s[52:53]
	v_fma_f64 v[70:71], v[10:11], s[0:1], v[26:27]
	v_fma_f64 v[26:27], v[10:11], s[0:1], -v[26:27]
	v_add_f64 v[46:47], v[50:51], v[46:47]
	v_mul_f64 v[50:51], v[8:9], s[24:25]
	v_add_f64 v[22:23], v[22:23], v[24:25]
	v_fma_f64 v[24:25], v[10:11], s[6:7], -v[68:69]
	v_add_f64 v[52:53], v[72:73], v[74:75]
	v_fma_f64 v[72:73], v[10:11], s[6:7], v[68:69]
	v_fma_f64 v[68:69], v[10:11], s[20:21], v[16:17]
	v_add_f64 v[42:43], v[70:71], v[42:43]
	v_add_f64 v[26:27], v[26:27], v[38:39]
	v_fma_f64 v[16:17], v[10:11], s[20:21], -v[16:17]
	v_fma_f64 v[38:39], v[10:11], s[16:17], v[50:51]
	v_mul_f64 v[70:71], v[8:9], s[38:39]
	v_add_f64 v[24:25], v[24:25], v[54:55]
	v_mul_f64 v[54:55], v[8:9], s[46:47]
	v_add_f64 v[0:1], v[0:1], -v[4:5]
	v_fma_f64 v[50:51], v[10:11], s[16:17], -v[50:51]
	v_mul_f64 v[8:9], v[8:9], s[18:19]
	v_add_f64 v[16:17], v[16:17], v[34:35]
	v_add_f64 v[34:35], v[38:39], v[48:49]
	v_fma_f64 v[4:5], v[10:11], s[30:31], v[70:71]
	v_fma_f64 v[38:39], v[10:11], s[30:31], -v[70:71]
	v_fma_f64 v[48:49], v[10:11], s[10:11], v[54:55]
	v_add_f64 v[2:3], v[6:7], v[2:3]
	v_mul_f64 v[6:7], v[0:1], s[38:39]
	v_add_f64 v[40:41], v[50:51], v[40:41]
	v_fma_f64 v[50:51], v[10:11], s[10:11], -v[54:55]
	v_add_f64 v[44:45], v[134:135], v[44:45]
	v_add_f64 v[4:5], v[4:5], v[20:21]
	;; [unrolled: 1-line block ×3, first 2 shown]
	v_fma_f64 v[20:21], v[10:11], s[14:15], v[8:9]
	v_mul_f64 v[38:39], v[0:1], s[44:45]
	v_add_f64 v[14:15], v[48:49], v[14:15]
	v_fma_f64 v[8:9], v[10:11], s[14:15], -v[8:9]
	v_fma_f64 v[10:11], v[2:3], s[30:31], v[6:7]
	v_mul_f64 v[48:49], v[0:1], s[28:29]
	v_fma_f64 v[6:7], v[2:3], s[30:31], -v[6:7]
	v_add_f64 v[32:33], v[50:51], v[32:33]
	v_add_f64 v[20:21], v[20:21], v[52:53]
	v_fma_f64 v[50:51], v[2:3], s[16:17], v[38:39]
	v_fma_f64 v[38:39], v[2:3], s[16:17], -v[38:39]
	v_mul_f64 v[52:53], v[0:1], s[46:47]
	v_add_f64 v[44:45], v[72:73], v[44:45]
	v_add_f64 v[8:9], v[8:9], v[12:13]
	v_fma_f64 v[12:13], v[2:3], s[26:27], v[48:49]
	v_add_f64 v[6:7], v[6:7], v[22:23]
	v_fma_f64 v[22:23], v[2:3], s[26:27], -v[48:49]
	v_add_f64 v[36:37], v[68:69], v[36:37]
	v_add_f64 v[26:27], v[38:39], v[26:27]
	v_fma_f64 v[38:39], v[2:3], s[10:11], v[52:53]
	v_mul_f64 v[48:49], v[0:1], s[22:23]
	v_add_f64 v[10:11], v[10:11], v[46:47]
	v_fma_f64 v[46:47], v[2:3], s[10:11], -v[52:53]
	v_add_f64 v[12:13], v[12:13], v[44:45]
	v_mul_f64 v[44:45], v[0:1], s[34:35]
	v_add_f64 v[22:23], v[22:23], v[24:25]
	v_mul_f64 v[24:25], v[0:1], s[18:19]
	v_mul_f64 v[0:1], v[0:1], s[42:43]
	v_add_f64 v[36:37], v[38:39], v[36:37]
	v_fma_f64 v[38:39], v[2:3], s[20:21], v[48:49]
	v_add_f64 v[42:43], v[50:51], v[42:43]
	v_add_f64 v[16:17], v[46:47], v[16:17]
	v_fma_f64 v[46:47], v[2:3], s[20:21], -v[48:49]
	v_fma_f64 v[48:49], v[2:3], s[0:1], v[44:45]
	v_fma_f64 v[50:51], v[2:3], s[14:15], v[24:25]
	;; [unrolled: 1-line block ×3, first 2 shown]
	v_fma_f64 v[0:1], v[2:3], s[6:7], -v[0:1]
	v_fma_f64 v[44:45], v[2:3], s[0:1], -v[44:45]
	;; [unrolled: 1-line block ×3, first 2 shown]
	v_add_f64 v[24:25], v[38:39], v[34:35]
	v_add_f64 v[34:35], v[46:47], v[40:41]
	;; [unrolled: 1-line block ×8, first 2 shown]
	s_movk_i32 s0, 0x88
	v_mad_u32_u24 v8, v132, s0, 0
	ds_write2_b64 v8, v[30:31], v[10:11] offset1:1
	ds_write2_b64 v8, v[42:43], v[12:13] offset0:2 offset1:3
	ds_write2_b64 v8, v[36:37], v[24:25] offset0:4 offset1:5
	;; [unrolled: 1-line block ×7, first 2 shown]
	ds_write_b64 v8, v[6:7] offset:128
.LBB0_17:
	s_or_b64 exec, exec, s[4:5]
	s_movk_i32 s0, 0xf1
	v_mul_lo_u16_sdwa v0, v172, s0 dst_sel:DWORD dst_unused:UNUSED_PAD src0_sel:BYTE_0 src1_sel:DWORD
	v_lshrrev_b16_e32 v8, 12, v0
	v_mul_lo_u16_e32 v0, 17, v8
	v_sub_u16_e32 v9, v172, v0
	v_mul_lo_u16_sdwa v0, v132, s0 dst_sel:DWORD dst_unused:UNUSED_PAD src0_sel:BYTE_0 src1_sel:DWORD
	v_lshrrev_b16_e32 v10, 12, v0
	v_mul_lo_u16_e32 v0, 17, v10
	v_mov_b32_e32 v18, 5
	v_sub_u16_e32 v11, v132, v0
	v_lshlrev_b32_sdwa v4, v18, v9 dst_sel:DWORD dst_unused:UNUSED_PAD src0_sel:DWORD src1_sel:BYTE_0
	v_lshlrev_b32_sdwa v0, v18, v11 dst_sel:DWORD dst_unused:UNUSED_PAD src0_sel:DWORD src1_sel:BYTE_0
	s_waitcnt lgkmcnt(0)
	; wave barrier
	s_waitcnt lgkmcnt(0)
	global_load_dwordx4 v[30:33], v4, s[8:9] offset:16
	global_load_dwordx4 v[34:37], v0, s[8:9] offset:16
	global_load_dwordx4 v[42:45], v0, s[8:9]
	v_add_u32_e32 v144, 0x66, v172
	v_mul_lo_u16_sdwa v0, v144, s0 dst_sel:DWORD dst_unused:UNUSED_PAD src0_sel:BYTE_0 src1_sel:DWORD
	v_lshrrev_b16_e32 v12, 12, v0
	v_mul_lo_u16_e32 v0, 17, v12
	v_add_u32_e32 v143, 0x99, v172
	v_sub_u16_e32 v13, v144, v0
	v_lshlrev_b32_sdwa v0, v18, v13 dst_sel:DWORD dst_unused:UNUSED_PAD src0_sel:DWORD src1_sel:BYTE_0
	v_mul_lo_u16_sdwa v14, v143, s0 dst_sel:DWORD dst_unused:UNUSED_PAD src0_sel:BYTE_0 src1_sel:DWORD
	ds_read2_b64 v[38:41], v133 offset1:51
	global_load_dwordx4 v[46:49], v0, s[8:9] offset:16
	global_load_dwordx4 v[50:53], v0, s[8:9]
	global_load_dwordx4 v[68:71], v4, s[8:9]
	v_lshrrev_b16_e32 v14, 12, v14
	v_mul_lo_u16_e32 v15, 17, v14
	v_sub_u16_e32 v15, v143, v15
	v_add_u32_e32 v141, 0xcc, v172
	v_lshlrev_b32_sdwa v16, v18, v15 dst_sel:DWORD dst_unused:UNUSED_PAD src0_sel:DWORD src1_sel:BYTE_0
	ds_read2_b64 v[0:3], v145 offset0:126 offset1:177
	ds_read2_b64 v[72:75], v150 offset0:98 offset1:149
	;; [unrolled: 1-line block ×7, first 2 shown]
	global_load_dwordx4 v[165:168], v16, s[8:9] offset:16
	global_load_dwordx4 v[173:176], v16, s[8:9]
	v_mul_lo_u16_sdwa v16, v141, s0 dst_sel:DWORD dst_unused:UNUSED_PAD src0_sel:BYTE_0 src1_sel:DWORD
	v_lshrrev_b16_e32 v16, 12, v16
	v_mul_lo_u16_e32 v17, 17, v16
	v_sub_u16_e32 v17, v141, v17
	v_add_u32_e32 v142, 0xff, v172
	v_lshlrev_b32_sdwa v18, v18, v17 dst_sel:DWORD dst_unused:UNUSED_PAD src0_sel:DWORD src1_sel:BYTE_0
	s_mov_b32 s0, 0xf0f1
	global_load_dwordx4 v[177:180], v18, s[8:9] offset:16
	global_load_dwordx4 v[181:184], v18, s[8:9]
	v_mul_u32_u24_sdwa v18, v142, s0 dst_sel:DWORD dst_unused:UNUSED_PAD src0_sel:WORD_0 src1_sel:DWORD
	v_lshrrev_b32_e32 v18, 20, v18
	v_mul_lo_u16_e32 v19, 17, v18
	v_sub_u16_e32 v19, v142, v19
	v_add_u32_e32 v140, 0x132, v172
	v_lshlrev_b32_e32 v20, 5, v19
	global_load_dwordx4 v[185:188], v20, s[8:9] offset:16
	global_load_dwordx4 v[189:192], v20, s[8:9]
	v_mul_u32_u24_sdwa v20, v140, s0 dst_sel:DWORD dst_unused:UNUSED_PAD src0_sel:WORD_0 src1_sel:DWORD
	v_lshrrev_b32_e32 v20, 20, v20
	v_mul_lo_u16_e32 v21, 17, v20
	v_sub_u16_e32 v21, v140, v21
	v_add_u32_e32 v139, 0x165, v172
	v_lshlrev_b32_e32 v22, 5, v21
	ds_read2_b64 v[193:196], v151 offset0:46 offset1:97
	ds_read2_b64 v[197:200], v147 offset0:48 offset1:99
	global_load_dwordx4 v[201:204], v22, s[8:9] offset:16
	global_load_dwordx4 v[205:208], v22, s[8:9]
	v_mul_u32_u24_sdwa v22, v139, s0 dst_sel:DWORD dst_unused:UNUSED_PAD src0_sel:WORD_0 src1_sel:DWORD
	v_lshrrev_b32_e32 v22, 20, v22
	v_mul_lo_u16_e32 v23, 17, v22
	v_sub_u16_e32 v23, v139, v23
	v_lshlrev_b32_e32 v24, 5, v23
	global_load_dwordx4 v[209:212], v24, s[8:9] offset:16
	global_load_dwordx4 v[213:216], v24, s[8:9]
	v_add_u32_e32 v138, 0x198, v172
	v_mul_u32_u24_sdwa v24, v138, s0 dst_sel:DWORD dst_unused:UNUSED_PAD src0_sel:WORD_0 src1_sel:DWORD
	v_lshrrev_b32_e32 v24, 20, v24
	v_mul_lo_u16_e32 v25, 17, v24
	v_sub_u16_e32 v25, v138, v25
	v_lshlrev_b32_e32 v26, 5, v25
	ds_read2_b64 v[217:220], v148 offset0:50 offset1:101
	ds_read2_b64 v[221:224], v151 offset0:148 offset1:199
	global_load_dwordx4 v[225:228], v26, s[8:9] offset:16
	global_load_dwordx4 v[229:232], v26, s[8:9]
	v_add_u32_e32 v135, 0x1cb, v172
	v_mul_u32_u24_sdwa v26, v135, s0 dst_sel:DWORD dst_unused:UNUSED_PAD src0_sel:WORD_0 src1_sel:DWORD
	v_lshrrev_b32_e32 v136, 20, v26
	v_mul_lo_u16_e32 v26, 17, v136
	v_sub_u16_e32 v137, v135, v26
	v_lshlrev_b32_e32 v26, 5, v137
	global_load_dwordx4 v[233:236], v26, s[8:9] offset:16
	global_load_dwordx4 v[237:240], v26, s[8:9]
	v_add_u32_e32 v134, 0x1fe, v172
	v_mul_u32_u24_sdwa v169, v134, s0 dst_sel:DWORD dst_unused:UNUSED_PAD src0_sel:WORD_0 src1_sel:DWORD
	v_lshrrev_b32_e32 v171, 20, v169
	v_mul_lo_u16_e32 v169, 17, v171
	v_sub_u16_e32 v249, v134, v169
	v_lshlrev_b32_e32 v169, 5, v249
	global_load_dwordx4 v[241:244], v169, s[8:9] offset:16
	global_load_dwordx4 v[245:248], v169, s[8:9]
	s_mov_b32 s0, 0xe8584caa
	s_mov_b32 s1, 0x3febb67a
	s_mov_b32 s5, 0xbfebb67a
	s_mov_b32 s4, s0
	s_movk_i32 s6, 0xa1
	s_mov_b32 s22, 0xf8bb580b
	s_mov_b32 s36, 0x8eee2c13
	s_waitcnt vmcnt(21) lgkmcnt(9)
	v_mul_f64 v[26:27], v[72:73], v[32:33]
	s_waitcnt vmcnt(20)
	v_mul_f64 v[54:55], v[74:75], v[36:37]
	v_mul_f64 v[32:33], v[128:129], v[32:33]
	;; [unrolled: 1-line block ×3, first 2 shown]
	s_mov_b32 s23, 0xbfe14ced
	s_mov_b32 s37, 0xbfed1bb4
	;; [unrolled: 1-line block ×4, first 2 shown]
	v_fma_f64 v[26:27], v[128:129], v[30:31], -v[26:27]
	s_waitcnt vmcnt(19) lgkmcnt(8)
	v_mul_f64 v[128:129], v[76:77], v[44:45]
	v_fma_f64 v[54:55], v[130:131], v[34:35], -v[54:55]
	v_mul_f64 v[44:45], v[124:125], v[44:45]
	s_waitcnt vmcnt(17)
	v_mul_f64 v[130:131], v[78:79], v[52:53]
	s_waitcnt vmcnt(16)
	v_mul_f64 v[169:170], v[2:3], v[70:71]
	v_mul_f64 v[52:53], v[126:127], v[52:53]
	;; [unrolled: 1-line block ×3, first 2 shown]
	v_fma_f64 v[72:73], v[72:73], v[30:31], v[32:33]
	v_fma_f64 v[124:125], v[124:125], v[42:43], -v[128:129]
	s_waitcnt lgkmcnt(6)
	v_mul_f64 v[128:129], v[157:158], v[48:49]
	v_mul_f64 v[48:49], v[120:121], v[48:49]
	v_fma_f64 v[126:127], v[126:127], v[50:51], -v[130:131]
	ds_read2_b64 v[30:33], v147 offset0:150 offset1:201
	v_fma_f64 v[50:51], v[78:79], v[50:51], v[52:53]
	v_fma_f64 v[52:53], v[58:59], v[68:69], -v[169:170]
	s_waitcnt vmcnt(15)
	v_mul_f64 v[58:59], v[159:160], v[167:168]
	v_fma_f64 v[2:3], v[2:3], v[68:69], v[70:71]
	v_mul_f64 v[68:69], v[122:123], v[167:168]
	v_fma_f64 v[70:71], v[120:121], v[46:47], -v[128:129]
	v_fma_f64 v[78:79], v[157:158], v[46:47], v[48:49]
	s_waitcnt vmcnt(14) lgkmcnt(6)
	v_mul_f64 v[120:121], v[161:162], v[175:176]
	s_waitcnt vmcnt(12)
	v_mul_f64 v[130:131], v[163:164], v[183:184]
	v_mul_f64 v[157:158], v[118:119], v[183:184]
	v_fma_f64 v[58:59], v[122:123], v[165:166], -v[58:59]
	v_mul_f64 v[122:123], v[116:117], v[175:176]
	v_fma_f64 v[68:69], v[159:160], v[165:166], v[68:69]
	v_mul_f64 v[159:160], v[112:113], v[179:180]
	s_waitcnt vmcnt(10) lgkmcnt(3)
	v_mul_f64 v[165:166], v[197:198], v[191:192]
	v_fma_f64 v[116:117], v[116:117], v[173:174], -v[120:121]
	v_mul_f64 v[120:121], v[193:194], v[179:180]
	v_fma_f64 v[118:119], v[118:119], v[181:182], -v[130:131]
	v_fma_f64 v[130:131], v[163:164], v[181:182], v[157:158]
	v_fma_f64 v[122:123], v[161:162], v[173:174], v[122:123]
	v_mul_f64 v[161:162], v[108:109], v[191:192]
	v_mul_f64 v[157:158], v[195:196], v[187:188]
	v_fma_f64 v[108:109], v[108:109], v[189:190], -v[165:166]
	s_waitcnt vmcnt(8)
	v_mul_f64 v[163:164], v[199:200], v[207:208]
	v_mul_f64 v[165:166], v[110:111], v[207:208]
	v_fma_f64 v[112:113], v[112:113], v[177:178], -v[120:121]
	v_fma_f64 v[120:121], v[193:194], v[177:178], v[159:160]
	v_mul_f64 v[159:160], v[114:115], v[187:188]
	s_waitcnt vmcnt(6) lgkmcnt(0)
	v_mul_f64 v[169:170], v[30:31], v[215:216]
	v_fma_f64 v[114:115], v[114:115], v[185:186], -v[157:158]
	v_mul_f64 v[157:158], v[221:222], v[203:204]
	v_mul_f64 v[167:168], v[104:105], v[203:204]
	;; [unrolled: 1-line block ×3, first 2 shown]
	v_fma_f64 v[110:111], v[110:111], v[205:206], -v[163:164]
	v_fma_f64 v[163:164], v[199:200], v[205:206], v[165:166]
	v_mul_f64 v[165:166], v[223:224], v[211:212]
	v_fma_f64 v[100:101], v[100:101], v[213:214], -v[169:170]
	s_waitcnt vmcnt(4)
	v_mul_f64 v[169:170], v[32:33], v[231:232]
	v_fma_f64 v[76:77], v[76:77], v[42:43], v[44:45]
	ds_read2_b64 v[42:45], v152 offset0:122 offset1:173
	v_fma_f64 v[104:105], v[104:105], v[201:202], -v[157:158]
	v_fma_f64 v[157:158], v[221:222], v[201:202], v[167:168]
	v_mul_f64 v[167:168], v[106:107], v[211:212]
	v_fma_f64 v[30:31], v[30:31], v[213:214], v[173:174]
	v_mul_f64 v[173:174], v[102:103], v[231:232]
	v_fma_f64 v[106:107], v[106:107], v[209:210], -v[165:166]
	s_waitcnt lgkmcnt(0)
	v_mul_f64 v[165:166], v[42:43], v[227:228]
	v_fma_f64 v[102:103], v[102:103], v[229:230], -v[169:170]
	s_waitcnt vmcnt(3)
	v_mul_f64 v[169:170], v[44:45], v[235:236]
	v_fma_f64 v[74:75], v[74:75], v[34:35], v[36:37]
	ds_read2_b64 v[34:37], v148 offset0:152 offset1:203
	ds_read2_b64 v[46:49], v149 offset0:124 offset1:175
	ds_read_b64 v[128:129], v133 offset:13056
	v_mul_f64 v[175:176], v[96:97], v[227:228]
	v_fma_f64 v[32:33], v[32:33], v[229:230], v[173:174]
	v_fma_f64 v[96:97], v[96:97], v[225:226], -v[165:166]
	s_waitcnt vmcnt(2) lgkmcnt(1)
	v_mul_f64 v[177:178], v[46:47], v[239:240]
	v_mul_f64 v[165:166], v[98:99], v[235:236]
	s_waitcnt vmcnt(0)
	v_mul_f64 v[173:174], v[48:49], v[247:248]
	v_fma_f64 v[98:99], v[98:99], v[233:234], -v[169:170]
	v_mul_f64 v[169:170], v[94:95], v[247:248]
	v_mul_f64 v[179:180], v[92:93], v[239:240]
	v_fma_f64 v[42:43], v[42:43], v[225:226], v[175:176]
	v_add_f64 v[175:176], v[52:53], v[26:27]
	v_fma_f64 v[92:93], v[92:93], v[237:238], -v[177:178]
	s_waitcnt lgkmcnt(0)
	v_mul_f64 v[177:178], v[128:129], v[243:244]
	v_fma_f64 v[44:45], v[44:45], v[233:234], v[165:166]
	v_add_f64 v[165:166], v[88:89], v[52:53]
	v_fma_f64 v[94:95], v[94:95], v[245:246], -v[173:174]
	v_add_f64 v[173:174], v[2:3], -v[72:73]
	v_fma_f64 v[48:49], v[48:49], v[245:246], v[169:170]
	v_add_f64 v[169:170], v[2:3], v[72:73]
	v_add_f64 v[2:3], v[38:39], v[2:3]
	v_fma_f64 v[46:47], v[46:47], v[237:238], v[179:180]
	v_mul_f64 v[179:180], v[28:29], v[243:244]
	v_fma_f64 v[88:89], v[175:176], -0.5, v[88:89]
	v_fma_f64 v[28:29], v[28:29], v[241:242], -v[177:178]
	v_add_f64 v[165:166], v[165:166], v[26:27]
	v_add_f64 v[177:178], v[124:125], v[54:55]
	v_fma_f64 v[38:39], v[169:170], -0.5, v[38:39]
	v_add_f64 v[26:27], v[52:53], -v[26:27]
	v_add_f64 v[72:73], v[2:3], v[72:73]
	v_add_f64 v[2:3], v[76:77], v[74:75]
	v_fma_f64 v[175:176], v[173:174], s[0:1], v[88:89]
	v_fma_f64 v[52:53], v[173:174], s[4:5], v[88:89]
	v_add_f64 v[88:89], v[90:91], v[124:125]
	v_fma_f64 v[90:91], v[177:178], -0.5, v[90:91]
	v_add_f64 v[169:170], v[76:77], -v[74:75]
	v_fma_f64 v[173:174], v[26:27], s[4:5], v[38:39]
	v_fma_f64 v[177:178], v[26:27], s[0:1], v[38:39]
	v_add_f64 v[26:27], v[40:41], v[76:77]
	v_add_f64 v[76:77], v[126:127], v[70:71]
	v_fma_f64 v[2:3], v[2:3], -0.5, v[40:41]
	v_add_f64 v[40:41], v[124:125], -v[54:55]
	v_add_f64 v[38:39], v[88:89], v[54:55]
	v_fma_f64 v[54:55], v[169:170], s[0:1], v[90:91]
	v_fma_f64 v[88:89], v[169:170], s[4:5], v[90:91]
	v_add_f64 v[90:91], v[84:85], v[126:127]
	v_add_f64 v[74:75], v[26:27], v[74:75]
	v_add_f64 v[26:27], v[50:51], v[78:79]
	v_fma_f64 v[76:77], v[76:77], -0.5, v[84:85]
	v_add_f64 v[84:85], v[50:51], -v[78:79]
	v_fma_f64 v[124:125], v[40:41], s[4:5], v[2:3]
	v_fma_f64 v[169:170], v[40:41], s[0:1], v[2:3]
	v_add_f64 v[2:3], v[153:154], v[50:51]
	v_add_f64 v[40:41], v[90:91], v[70:71]
	v_add_f64 v[70:71], v[126:127], -v[70:71]
	v_fma_f64 v[26:27], v[26:27], -0.5, v[153:154]
	v_add_f64 v[50:51], v[116:117], v[58:59]
	v_fma_f64 v[90:91], v[84:85], s[0:1], v[76:77]
	v_fma_f64 v[76:77], v[84:85], s[4:5], v[76:77]
	v_add_f64 v[84:85], v[86:87], v[116:117]
	v_add_f64 v[78:79], v[2:3], v[78:79]
	;; [unrolled: 1-line block ×3, first 2 shown]
	v_fma_f64 v[161:162], v[197:198], v[189:190], v[161:162]
	v_fma_f64 v[126:127], v[70:71], s[4:5], v[26:27]
	;; [unrolled: 1-line block ×3, first 2 shown]
	v_add_f64 v[26:27], v[155:156], v[122:123]
	v_fma_f64 v[159:160], v[195:196], v[185:186], v[159:160]
	v_add_f64 v[84:85], v[84:85], v[58:59]
	v_add_f64 v[58:59], v[116:117], -v[58:59]
	v_fma_f64 v[2:3], v[2:3], -0.5, v[155:156]
	v_fma_f64 v[50:51], v[50:51], -0.5, v[86:87]
	v_add_f64 v[86:87], v[122:123], -v[68:69]
	v_add_f64 v[122:123], v[118:119], v[112:113]
	v_add_f64 v[68:69], v[26:27], v[68:69]
	v_add_f64 v[26:27], v[130:131], v[120:121]
	v_add_f64 v[155:156], v[110:111], v[104:105]
	v_fma_f64 v[167:168], v[223:224], v[209:210], v[167:168]
	v_fma_f64 v[153:154], v[58:59], s[4:5], v[2:3]
	;; [unrolled: 1-line block ×3, first 2 shown]
	v_add_f64 v[2:3], v[4:5], v[130:131]
	v_fma_f64 v[116:117], v[86:87], s[0:1], v[50:51]
	v_fma_f64 v[50:51], v[86:87], s[4:5], v[50:51]
	v_add_f64 v[86:87], v[80:81], v[118:119]
	v_fma_f64 v[80:81], v[122:123], -0.5, v[80:81]
	v_add_f64 v[122:123], v[130:131], -v[120:121]
	v_add_f64 v[130:131], v[108:109], v[114:115]
	v_fma_f64 v[4:5], v[26:27], -0.5, v[4:5]
	v_add_f64 v[26:27], v[118:119], -v[112:113]
	v_add_f64 v[120:121], v[2:3], v[120:121]
	v_add_f64 v[2:3], v[161:162], v[159:160]
	;; [unrolled: 1-line block ×4, first 2 shown]
	v_fma_f64 v[112:113], v[122:123], s[0:1], v[80:81]
	v_fma_f64 v[80:81], v[122:123], s[4:5], v[80:81]
	v_fma_f64 v[82:83], v[130:131], -0.5, v[82:83]
	v_add_f64 v[122:123], v[161:162], -v[159:160]
	v_fma_f64 v[130:131], v[26:27], s[4:5], v[4:5]
	v_fma_f64 v[4:5], v[26:27], s[0:1], v[4:5]
	v_add_f64 v[26:27], v[6:7], v[161:162]
	v_fma_f64 v[2:3], v[2:3], -0.5, v[6:7]
	v_add_f64 v[6:7], v[108:109], -v[114:115]
	v_add_f64 v[118:119], v[118:119], v[114:115]
	v_add_f64 v[114:115], v[64:65], v[110:111]
	v_fma_f64 v[108:109], v[122:123], s[0:1], v[82:83]
	v_fma_f64 v[82:83], v[122:123], s[4:5], v[82:83]
	v_fma_f64 v[64:65], v[155:156], -0.5, v[64:65]
	v_add_f64 v[122:123], v[26:27], v[159:160]
	v_add_f64 v[26:27], v[163:164], v[157:158]
	v_add_f64 v[155:156], v[163:164], -v[157:158]
	v_fma_f64 v[159:160], v[6:7], s[4:5], v[2:3]
	v_fma_f64 v[6:7], v[6:7], s[0:1], v[2:3]
	v_add_f64 v[2:3], v[217:218], v[163:164]
	v_add_f64 v[161:162], v[100:101], v[106:107]
	;; [unrolled: 1-line block ×3, first 2 shown]
	v_add_f64 v[104:105], v[110:111], -v[104:105]
	v_fma_f64 v[26:27], v[26:27], -0.5, v[217:218]
	v_fma_f64 v[110:111], v[155:156], s[0:1], v[64:65]
	v_fma_f64 v[64:65], v[155:156], s[4:5], v[64:65]
	v_add_f64 v[155:156], v[66:67], v[100:101]
	v_add_f64 v[157:158], v[2:3], v[157:158]
	;; [unrolled: 1-line block ×3, first 2 shown]
	v_fma_f64 v[66:67], v[161:162], -0.5, v[66:67]
	v_add_f64 v[161:162], v[30:31], -v[167:168]
	v_add_f64 v[30:31], v[219:220], v[30:31]
	v_fma_f64 v[128:129], v[128:129], v[241:242], v[179:180]
	v_fma_f64 v[163:164], v[104:105], s[4:5], v[26:27]
	;; [unrolled: 1-line block ×3, first 2 shown]
	v_add_f64 v[26:27], v[155:156], v[106:107]
	v_add_f64 v[104:105], v[102:103], v[96:97]
	v_fma_f64 v[2:3], v[2:3], -0.5, v[219:220]
	v_add_f64 v[100:101], v[100:101], -v[106:107]
	v_add_f64 v[155:156], v[30:31], v[167:168]
	v_add_f64 v[30:31], v[32:33], v[42:43]
	v_fma_f64 v[106:107], v[161:162], s[0:1], v[66:67]
	v_fma_f64 v[66:67], v[161:162], s[4:5], v[66:67]
	v_add_f64 v[161:162], v[60:61], v[102:103]
	v_fma_f64 v[60:61], v[104:105], -0.5, v[60:61]
	v_add_f64 v[104:105], v[32:33], -v[42:43]
	v_fma_f64 v[167:168], v[100:101], s[4:5], v[2:3]
	v_add_f64 v[181:182], v[92:93], v[98:99]
	v_fma_f64 v[100:101], v[100:101], s[0:1], v[2:3]
	v_add_f64 v[2:3], v[34:35], v[32:33]
	v_fma_f64 v[30:31], v[30:31], -0.5, v[34:35]
	v_add_f64 v[32:33], v[102:103], -v[96:97]
	v_add_f64 v[102:103], v[62:63], v[92:93]
	v_add_f64 v[34:35], v[161:162], v[96:97]
	v_add_f64 v[161:162], v[46:47], -v[44:45]
	v_fma_f64 v[62:63], v[181:182], -0.5, v[62:63]
	v_fma_f64 v[96:97], v[104:105], s[0:1], v[60:61]
	v_add_f64 v[181:182], v[2:3], v[42:43]
	v_add_f64 v[2:3], v[46:47], v[44:45]
	v_fma_f64 v[183:184], v[32:33], s[4:5], v[30:31]
	v_fma_f64 v[185:186], v[32:33], s[0:1], v[30:31]
	v_add_f64 v[30:31], v[102:103], v[98:99]
	v_add_f64 v[32:33], v[94:95], v[28:29]
	;; [unrolled: 1-line block ×4, first 2 shown]
	v_fma_f64 v[42:43], v[161:162], s[0:1], v[62:63]
	v_fma_f64 v[2:3], v[2:3], -0.5, v[36:37]
	v_add_f64 v[36:37], v[92:93], -v[98:99]
	v_add_f64 v[92:93], v[56:57], v[94:95]
	v_add_f64 v[94:95], v[94:95], -v[28:29]
	v_fma_f64 v[32:33], v[32:33], -0.5, v[56:57]
	v_add_f64 v[56:57], v[48:49], -v[128:129]
	v_add_f64 v[48:49], v[0:1], v[48:49]
	v_fma_f64 v[0:1], v[102:103], -0.5, v[0:1]
	v_fma_f64 v[62:63], v[161:162], s[4:5], v[62:63]
	v_fma_f64 v[161:162], v[36:37], s[4:5], v[2:3]
	;; [unrolled: 1-line block ×3, first 2 shown]
	v_add_f64 v[2:3], v[92:93], v[28:29]
	v_fma_f64 v[60:61], v[104:105], s[4:5], v[60:61]
	v_fma_f64 v[28:29], v[56:57], s[0:1], v[32:33]
	;; [unrolled: 1-line block ×5, first 2 shown]
	v_mov_b32_e32 v1, 3
	v_mul_u32_u24_e32 v0, 0x198, v8
	v_lshlrev_b32_sdwa v8, v1, v9 dst_sel:DWORD dst_unused:UNUSED_PAD src0_sel:DWORD src1_sel:BYTE_0
	v_add_f64 v[56:57], v[48:49], v[128:129]
	v_add3_u32 v128, 0, v0, v8
	v_mul_u32_u24_e32 v0, 0x198, v10
	v_lshlrev_b32_sdwa v8, v1, v11 dst_sel:DWORD dst_unused:UNUSED_PAD src0_sel:DWORD src1_sel:BYTE_0
	v_add3_u32 v129, 0, v0, v8
	v_mul_u32_u24_e32 v0, 0x198, v12
	v_lshlrev_b32_sdwa v8, v1, v13 dst_sel:DWORD dst_unused:UNUSED_PAD src0_sel:DWORD src1_sel:BYTE_0
	;; [unrolled: 3-line block ×4, first 2 shown]
	v_add3_u32 v14, 0, v0, v1
	v_mul_u32_u24_e32 v0, 0x198, v18
	v_lshlrev_b32_e32 v1, 3, v19
	v_add3_u32 v15, 0, v0, v1
	v_mul_u32_u24_e32 v0, 0x198, v20
	v_lshlrev_b32_e32 v1, 3, v21
	s_waitcnt lgkmcnt(0)
	; wave barrier
	ds_write2_b64 v128, v[165:166], v[175:176] offset1:17
	ds_write_b64 v128, v[52:53] offset:272
	ds_write2_b64 v129, v[38:39], v[54:55] offset1:17
	ds_write_b64 v129, v[88:89] offset:272
	v_add3_u32 v54, 0, v0, v1
	v_mul_u32_u24_e32 v0, 0x198, v22
	v_lshlrev_b32_e32 v1, 3, v23
	v_add3_u32 v55, 0, v0, v1
	v_mul_u32_u24_e32 v0, 0x198, v24
	v_lshlrev_b32_e32 v1, 3, v25
	ds_write2_b64 v12, v[40:41], v[90:91] offset1:17
	ds_write_b64 v12, v[76:77] offset:272
	ds_write2_b64 v13, v[84:85], v[116:117] offset1:17
	ds_write_b64 v13, v[50:51] offset:272
	;; [unrolled: 2-line block ×5, first 2 shown]
	v_add3_u32 v64, 0, v0, v1
	v_mul_u32_u24_e32 v0, 0x198, v136
	v_lshlrev_b32_e32 v1, 3, v137
	ds_write2_b64 v55, v[26:27], v[106:107] offset1:17
	ds_write_b64 v55, v[66:67] offset:272
	ds_write2_b64 v64, v[34:35], v[96:97] offset1:17
	ds_write_b64 v64, v[60:61] offset:272
	v_add3_u32 v60, 0, v0, v1
	v_mul_u32_u24_e32 v0, 0x198, v171
	v_lshlrev_b32_e32 v1, 3, v249
	v_add3_u32 v61, 0, v0, v1
	v_add_f64 v[102:103], v[46:47], v[44:45]
	ds_write2_b64 v60, v[30:31], v[42:43] offset1:17
	ds_write_b64 v60, v[62:63] offset:272
	ds_write2_b64 v61, v[2:3], v[28:29] offset1:17
	ds_write_b64 v61, v[32:33] offset:272
	s_waitcnt lgkmcnt(0)
	; wave barrier
	s_waitcnt lgkmcnt(0)
	ds_read2_b64 v[8:11], v133 offset1:51
	ds_read2_b64 v[0:3], v133 offset0:102 offset1:153
	ds_read2_b64 v[28:31], v148 offset0:50 offset1:101
	;; [unrolled: 1-line block ×15, first 2 shown]
	ds_read_b64 v[52:53], v133 offset:13056
	s_waitcnt lgkmcnt(0)
	; wave barrier
	s_waitcnt lgkmcnt(0)
	ds_write2_b64 v128, v[72:73], v[173:174] offset1:17
	ds_write_b64 v128, v[177:178] offset:272
	ds_write2_b64 v129, v[74:75], v[124:125] offset1:17
	ds_write_b64 v129, v[169:170] offset:272
	;; [unrolled: 2-line block ×11, first 2 shown]
	v_mul_u32_u24_e32 v4, 10, v172
	v_lshlrev_b32_e32 v64, 4, v4
	s_waitcnt lgkmcnt(0)
	; wave barrier
	s_waitcnt lgkmcnt(0)
	global_load_dwordx4 v[54:57], v64, s[8:9] offset:544
	global_load_dwordx4 v[58:61], v64, s[8:9] offset:560
	;; [unrolled: 1-line block ×8, first 2 shown]
	ds_read2_b64 v[12:15], v133 offset1:51
	ds_read2_b64 v[4:7], v133 offset0:102 offset1:153
	ds_read2_b64 v[100:103], v148 offset0:50 offset1:101
	ds_read2_b64 v[92:95], v148 offset0:152 offset1:203
	ds_read2_b64 v[161:164], v146 offset0:100 offset1:151
	ds_read2_b64 v[165:168], v146 offset0:202 offset1:253
	ds_read2_b64 v[173:176], v147 offset0:150 offset1:201
	ds_read2_b64 v[177:180], v149 offset0:124 offset1:175
	ds_read2_b64 v[181:184], v150 offset0:200 offset1:251
	ds_read2_b64 v[185:188], v151 offset0:46 offset1:97
	global_load_dwordx4 v[189:192], v64, s[8:9] offset:688
	global_load_dwordx4 v[193:196], v64, s[8:9] offset:672
	v_mul_lo_u16_sdwa v76, v144, s6 dst_sel:DWORD dst_unused:UNUSED_PAD src0_sel:BYTE_0 src1_sel:DWORD
	v_lshrrev_b16_e32 v76, 13, v76
	v_mul_lo_u16_e32 v76, 51, v76
	v_sub_u16_e32 v76, v144, v76
	v_and_b32_e32 v130, 0xff, v76
	v_mul_u32_u24_e32 v76, 10, v130
	v_lshlrev_b32_e32 v128, 4, v76
	ds_read2_b64 v[197:200], v152 offset0:122 offset1:173
	ds_read2_b64 v[201:204], v133 offset0:204 offset1:255
	;; [unrolled: 1-line block ×6, first 2 shown]
	global_load_dwordx4 v[221:224], v128, s[8:9] offset:560
	global_load_dwordx4 v[225:228], v128, s[8:9] offset:544
	s_mov_b32 s6, 0xd9c712b6
	s_mov_b32 s7, 0x3fda9628
	;; [unrolled: 1-line block ×22, first 2 shown]
	s_waitcnt vmcnt(11) lgkmcnt(14)
	v_mul_f64 v[62:63], v[6:7], v[56:57]
	s_waitcnt vmcnt(10)
	v_mul_f64 v[64:65], v[28:29], v[60:61]
	s_waitcnt vmcnt(9)
	v_mul_f64 v[68:69], v[34:35], v[72:73]
	s_waitcnt lgkmcnt(12)
	v_mul_f64 v[66:67], v[94:95], v[72:73]
	s_waitcnt vmcnt(8) lgkmcnt(11)
	v_mul_f64 v[74:75], v[161:162], v[110:111]
	v_fma_f64 v[249:250], v[2:3], v[54:55], -v[62:63]
	v_mul_f64 v[2:3], v[2:3], v[56:57]
	v_mul_f64 v[62:63], v[100:101], v[60:61]
	v_fma_f64 v[136:137], v[94:95], v[70:71], v[68:69]
	s_waitcnt vmcnt(6) lgkmcnt(9)
	v_mul_f64 v[68:69], v[173:174], v[126:127]
	v_fma_f64 v[100:101], v[100:101], v[58:59], v[64:65]
	v_fma_f64 v[253:254], v[34:35], v[70:71], -v[66:67]
	v_fma_f64 v[76:77], v[36:37], v[108:109], -v[74:75]
	s_waitcnt lgkmcnt(4)
	v_mul_f64 v[94:95], v[201:202], v[56:57]
	v_fma_f64 v[2:3], v[6:7], v[54:55], v[2:3]
	v_fma_f64 v[251:252], v[28:29], v[58:59], -v[62:63]
	v_mul_f64 v[6:7], v[36:37], v[110:111]
	v_mul_f64 v[28:29], v[167:168], v[118:119]
	;; [unrolled: 1-line block ×3, first 2 shown]
	global_load_dwordx4 v[34:37], v128, s[8:9] offset:592
	global_load_dwordx4 v[229:232], v128, s[8:9] offset:576
	v_fma_f64 v[68:69], v[44:45], v[124:125], -v[68:69]
	v_fma_f64 v[94:95], v[84:85], v[54:55], -v[94:95]
	v_fma_f64 v[78:79], v[161:162], v[108:109], v[6:7]
	v_mul_f64 v[6:7], v[44:45], v[126:127]
	v_fma_f64 v[64:65], v[42:43], v[116:117], -v[28:29]
	v_mul_f64 v[42:43], v[30:31], v[60:61]
	v_mul_f64 v[44:45], v[84:85], v[56:57]
	v_fma_f64 v[66:67], v[167:168], v[116:117], v[62:63]
	v_mul_f64 v[28:29], v[102:103], v[60:61]
	global_load_dwordx4 v[167:170], v128, s[8:9] offset:624
	global_load_dwordx4 v[233:236], v128, s[8:9] offset:608
	;; [unrolled: 1-line block ×4, first 2 shown]
	v_fma_f64 v[74:75], v[173:174], v[124:125], v[6:7]
	s_waitcnt vmcnt(11)
	v_mul_f64 v[6:7], v[179:180], v[155:156]
	v_fma_f64 v[122:123], v[102:103], v[58:59], v[42:43]
	v_fma_f64 v[102:103], v[201:202], v[54:55], v[44:45]
	v_mul_f64 v[44:45], v[38:39], v[110:111]
	v_fma_f64 v[120:121], v[30:31], v[58:59], -v[28:29]
	s_waitcnt lgkmcnt(3)
	v_mul_f64 v[28:29], v[205:206], v[72:73]
	v_mul_f64 v[30:31], v[88:89], v[72:73]
	;; [unrolled: 1-line block ×3, first 2 shown]
	v_fma_f64 v[84:85], v[26:27], v[153:154], -v[6:7]
	s_waitcnt lgkmcnt(2)
	v_mul_f64 v[6:7], v[209:210], v[118:119]
	v_mul_f64 v[54:55], v[26:27], v[155:156]
	v_fma_f64 v[72:73], v[163:164], v[108:109], v[44:45]
	global_load_dwordx4 v[161:164], v128, s[8:9] offset:688
	global_load_dwordx4 v[245:248], v128, s[8:9] offset:672
	v_fma_f64 v[112:113], v[88:89], v[70:71], -v[28:29]
	v_fma_f64 v[114:115], v[205:206], v[70:71], v[30:31]
	v_fma_f64 v[70:71], v[38:39], v[108:109], -v[42:43]
	v_mul_f64 v[38:39], v[175:176], v[126:127]
	v_mul_f64 v[42:43], v[46:47], v[126:127]
	;; [unrolled: 1-line block ×3, first 2 shown]
	v_fma_f64 v[60:61], v[96:97], v[116:117], -v[6:7]
	s_waitcnt vmcnt(12)
	v_mul_f64 v[6:7], v[183:184], v[159:160]
	v_mul_f64 v[28:29], v[181:182], v[159:160]
	;; [unrolled: 1-line block ×3, first 2 shown]
	v_fma_f64 v[88:89], v[179:180], v[153:154], v[54:55]
	v_fma_f64 v[56:57], v[46:47], v[124:125], -v[38:39]
	s_waitcnt vmcnt(10)
	v_mul_f64 v[38:39], v[187:188], v[195:196]
	v_fma_f64 v[58:59], v[175:176], v[124:125], v[42:43]
	v_mul_f64 v[42:43], v[18:19], v[195:196]
	v_fma_f64 v[62:63], v[209:210], v[116:117], v[26:27]
	v_fma_f64 v[116:117], v[50:51], v[157:158], -v[6:7]
	v_mul_f64 v[6:7], v[20:21], v[195:196]
	v_fma_f64 v[173:174], v[48:49], v[157:158], -v[28:29]
	s_waitcnt lgkmcnt(1)
	v_mul_f64 v[28:29], v[213:214], v[155:156]
	v_fma_f64 v[96:97], v[18:19], v[193:194], -v[38:39]
	s_waitcnt lgkmcnt(0)
	v_mul_f64 v[18:19], v[217:218], v[195:196]
	v_fma_f64 v[179:180], v[181:182], v[157:158], v[30:31]
	v_mul_f64 v[30:31], v[104:105], v[155:156]
	v_mul_f64 v[26:27], v[197:198], v[191:192]
	v_fma_f64 v[126:127], v[217:218], v[193:194], v[6:7]
	v_mul_f64 v[6:7], v[82:83], v[191:192]
	v_fma_f64 v[108:109], v[104:105], v[153:154], -v[28:29]
	v_mul_f64 v[28:29], v[50:51], v[159:160]
	v_fma_f64 v[124:125], v[20:21], v[193:194], -v[18:19]
	v_add_f64 v[18:19], v[8:9], v[249:250]
	v_add_f64 v[20:21], v[12:13], v[2:3]
	v_fma_f64 v[110:111], v[213:214], v[153:154], v[30:31]
	v_fma_f64 v[153:154], v[187:188], v[193:194], v[42:43]
	;; [unrolled: 1-line block ×3, first 2 shown]
	s_waitcnt vmcnt(9)
	v_mul_f64 v[6:7], v[92:93], v[223:224]
	v_fma_f64 v[155:156], v[80:81], v[189:190], -v[26:27]
	v_mul_f64 v[26:27], v[80:81], v[191:192]
	v_add_f64 v[18:19], v[18:19], v[251:252]
	v_add_f64 v[20:21], v[20:21], v[100:101]
	v_fma_f64 v[118:119], v[183:184], v[157:158], v[28:29]
	v_mul_f64 v[28:29], v[199:200], v[191:192]
	s_waitcnt vmcnt(8)
	v_mul_f64 v[30:31], v[203:204], v[227:228]
	v_fma_f64 v[42:43], v[32:33], v[221:222], -v[6:7]
	v_mul_f64 v[38:39], v[86:87], v[227:228]
	v_fma_f64 v[80:81], v[197:198], v[189:190], v[26:27]
	v_add_f64 v[18:19], v[18:19], v[253:254]
	v_add_f64 v[20:21], v[20:21], v[136:137]
	v_mul_f64 v[26:27], v[32:33], v[223:224]
	v_fma_f64 v[104:105], v[82:83], v[189:190], -v[28:29]
	v_fma_f64 v[48:49], v[86:87], v[225:226], -v[30:31]
	s_waitcnt vmcnt(7)
	v_mul_f64 v[46:47], v[165:166], v[36:37]
	s_waitcnt vmcnt(6)
	v_mul_f64 v[28:29], v[207:208], v[231:232]
	v_mul_f64 v[30:31], v[90:91], v[231:232]
	v_add_f64 v[6:7], v[18:19], v[76:77]
	v_add_f64 v[18:19], v[20:21], v[78:79]
	v_mul_f64 v[82:83], v[40:41], v[36:37]
	v_fma_f64 v[50:51], v[203:204], v[225:226], v[38:39]
	v_fma_f64 v[44:45], v[92:93], v[221:222], v[26:27]
	ds_read_b64 v[54:55], v133 offset:13056
	v_fma_f64 v[36:37], v[90:91], v[229:230], -v[28:29]
	v_fma_f64 v[38:39], v[207:208], v[229:230], v[30:31]
	v_fma_f64 v[28:29], v[40:41], v[34:35], -v[46:47]
	v_add_f64 v[32:33], v[18:19], v[66:67]
	v_fma_f64 v[30:31], v[165:166], v[34:35], v[82:83]
	s_waitcnt vmcnt(4)
	v_mul_f64 v[20:21], v[211:212], v[235:236]
	v_mul_f64 v[26:27], v[98:99], v[235:236]
	v_add_f64 v[6:7], v[6:7], v[64:65]
	v_mul_f64 v[34:35], v[177:178], v[169:170]
	v_mul_f64 v[40:41], v[24:25], v[169:170]
	s_waitcnt vmcnt(2)
	v_mul_f64 v[46:47], v[215:216], v[243:244]
	v_mul_f64 v[82:83], v[106:107], v[243:244]
	v_add_f64 v[86:87], v[32:33], v[74:75]
	v_fma_f64 v[18:19], v[98:99], v[233:234], -v[20:21]
	v_fma_f64 v[20:21], v[211:212], v[233:234], v[26:27]
	v_add_f64 v[6:7], v[6:7], v[68:69]
	v_fma_f64 v[24:25], v[24:25], v[167:168], -v[34:35]
	v_fma_f64 v[26:27], v[177:178], v[167:168], v[40:41]
	v_fma_f64 v[32:33], v[106:107], v[241:242], -v[46:47]
	v_fma_f64 v[34:35], v[215:216], v[241:242], v[82:83]
	v_mul_f64 v[40:41], v[185:186], v[239:240]
	v_mul_f64 v[46:47], v[16:17], v[239:240]
	v_add_f64 v[82:83], v[86:87], v[88:89]
	s_waitcnt vmcnt(0)
	v_mul_f64 v[86:87], v[219:220], v[247:248]
	v_mul_f64 v[90:91], v[22:23], v[247:248]
	v_add_f64 v[6:7], v[6:7], v[84:85]
	s_waitcnt lgkmcnt(0)
	v_mul_f64 v[92:93], v[54:55], v[163:164]
	v_mul_f64 v[98:99], v[52:53], v[163:164]
	v_fma_f64 v[16:17], v[16:17], v[237:238], -v[40:41]
	v_fma_f64 v[40:41], v[185:186], v[237:238], v[46:47]
	v_add_f64 v[82:83], v[82:83], v[179:180]
	v_fma_f64 v[22:23], v[22:23], v[245:246], -v[86:87]
	v_fma_f64 v[46:47], v[219:220], v[245:246], v[90:91]
	v_add_f64 v[86:87], v[2:3], -v[80:81]
	v_add_f64 v[90:91], v[249:250], -v[155:156]
	v_add_f64 v[6:7], v[6:7], v[173:174]
	v_fma_f64 v[52:53], v[52:53], v[161:162], -v[92:93]
	v_fma_f64 v[54:55], v[54:55], v[161:162], v[98:99]
	v_add_f64 v[92:93], v[249:250], v[155:156]
	v_add_f64 v[98:99], v[2:3], v[80:81]
	;; [unrolled: 1-line block ×3, first 2 shown]
	v_mul_f64 v[2:3], v[86:87], s[22:23]
	v_mul_f64 v[106:107], v[90:91], s[22:23]
	;; [unrolled: 1-line block ×4, first 2 shown]
	v_add_f64 v[6:7], v[6:7], v[96:97]
	v_add_f64 v[187:188], v[100:101], -v[153:154]
	v_add_f64 v[189:190], v[251:252], -v[96:97]
	v_mul_f64 v[175:176], v[90:91], s[18:19]
	v_fma_f64 v[161:162], v[92:93], s[10:11], -v[2:3]
	v_fma_f64 v[163:164], v[98:99], s[10:11], v[106:107]
	v_fma_f64 v[165:166], v[92:93], s[10:11], v[2:3]
	v_fma_f64 v[167:168], v[92:93], s[6:7], -v[157:158]
	v_fma_f64 v[169:170], v[98:99], s[6:7], v[159:160]
	v_fma_f64 v[106:107], v[98:99], s[10:11], -v[106:107]
	v_add_f64 v[2:3], v[6:7], v[155:156]
	v_add_f64 v[6:7], v[82:83], v[80:81]
	;; [unrolled: 1-line block ×7, first 2 shown]
	v_mul_f64 v[165:166], v[86:87], s[14:15]
	v_mul_f64 v[167:168], v[90:91], s[14:15]
	;; [unrolled: 1-line block ×5, first 2 shown]
	v_add_f64 v[96:97], v[251:252], v[96:97]
	v_add_f64 v[100:101], v[100:101], v[153:154]
	v_mul_f64 v[153:154], v[187:188], s[36:37]
	v_mul_f64 v[195:196], v[189:190], s[36:37]
	;; [unrolled: 1-line block ×3, first 2 shown]
	v_add_f64 v[106:107], v[12:13], v[106:107]
	v_fma_f64 v[157:158], v[92:93], s[6:7], v[157:158]
	v_fma_f64 v[159:160], v[98:99], s[6:7], -v[159:160]
	v_fma_f64 v[177:178], v[92:93], s[16:17], -v[165:166]
	v_fma_f64 v[181:182], v[98:99], s[16:17], v[167:168]
	v_fma_f64 v[165:166], v[92:93], s[16:17], v[165:166]
	v_fma_f64 v[167:168], v[98:99], s[16:17], -v[167:168]
	v_fma_f64 v[183:184], v[92:93], s[20:21], -v[169:170]
	v_fma_f64 v[185:186], v[98:99], s[20:21], v[175:176]
	;; [unrolled: 4-line block ×3, first 2 shown]
	v_mul_f64 v[199:200], v[189:190], s[18:19]
	v_fma_f64 v[86:87], v[92:93], s[24:25], v[86:87]
	v_fma_f64 v[90:91], v[98:99], s[24:25], -v[90:91]
	v_fma_f64 v[92:93], v[96:97], s[6:7], -v[153:154]
	v_fma_f64 v[98:99], v[100:101], s[6:7], v[195:196]
	v_fma_f64 v[153:154], v[96:97], s[6:7], v[153:154]
	v_fma_f64 v[195:196], v[100:101], s[6:7], -v[195:196]
	v_fma_f64 v[201:202], v[96:97], s[20:21], -v[197:198]
	v_add_f64 v[157:158], v[8:9], v[157:158]
	v_add_f64 v[159:160], v[12:13], v[159:160]
	;; [unrolled: 1-line block ×12, first 2 shown]
	v_fma_f64 v[203:204], v[100:101], s[20:21], v[199:200]
	v_add_f64 v[8:9], v[8:9], v[86:87]
	v_add_f64 v[12:13], v[12:13], v[90:91]
	;; [unrolled: 1-line block ×6, first 2 shown]
	v_mul_f64 v[106:107], v[187:188], s[38:39]
	v_mul_f64 v[153:154], v[189:190], s[38:39]
	;; [unrolled: 1-line block ×4, first 2 shown]
	v_add_f64 v[82:83], v[98:99], v[82:83]
	v_add_f64 v[98:99], v[203:204], v[163:164]
	v_fma_f64 v[163:164], v[96:97], s[20:21], v[197:198]
	v_fma_f64 v[195:196], v[100:101], s[20:21], -v[199:200]
	v_fma_f64 v[197:198], v[96:97], s[24:25], -v[106:107]
	v_fma_f64 v[199:200], v[100:101], s[24:25], v[153:154]
	v_fma_f64 v[106:107], v[96:97], s[24:25], v[106:107]
	v_fma_f64 v[153:154], v[100:101], s[24:25], -v[153:154]
	v_fma_f64 v[201:202], v[96:97], s[16:17], -v[155:156]
	v_fma_f64 v[203:204], v[100:101], s[16:17], v[161:162]
	v_add_f64 v[157:158], v[163:164], v[157:158]
	v_add_f64 v[159:160], v[195:196], v[159:160]
	;; [unrolled: 1-line block ×8, first 2 shown]
	v_add_f64 v[181:182], v[136:137], -v[179:180]
	v_add_f64 v[183:184], v[253:254], -v[173:174]
	v_mul_f64 v[185:186], v[187:188], s[28:29]
	v_mul_f64 v[187:188], v[189:190], s[28:29]
	v_fma_f64 v[155:156], v[96:97], s[16:17], v[155:156]
	v_fma_f64 v[161:162], v[100:101], s[16:17], -v[161:162]
	v_add_f64 v[173:174], v[253:254], v[173:174]
	v_add_f64 v[136:137], v[136:137], v[179:180]
	v_mul_f64 v[179:180], v[181:182], s[14:15]
	v_mul_f64 v[189:190], v[183:184], s[14:15]
	v_fma_f64 v[195:196], v[96:97], s[10:11], -v[185:186]
	v_fma_f64 v[197:198], v[100:101], s[10:11], v[187:188]
	v_add_f64 v[155:156], v[155:156], v[169:170]
	v_add_f64 v[161:162], v[161:162], v[175:176]
	v_fma_f64 v[96:97], v[96:97], s[10:11], v[185:186]
	v_fma_f64 v[100:101], v[100:101], s[10:11], -v[187:188]
	v_fma_f64 v[169:170], v[173:174], s[16:17], -v[179:180]
	v_fma_f64 v[175:176], v[136:137], s[16:17], v[189:190]
	v_add_f64 v[185:186], v[195:196], v[191:192]
	v_add_f64 v[187:188], v[197:198], v[193:194]
	v_mul_f64 v[191:192], v[181:182], s[38:39]
	v_mul_f64 v[193:194], v[183:184], s[38:39]
	v_add_f64 v[8:9], v[96:97], v[8:9]
	v_add_f64 v[12:13], v[100:101], v[12:13]
	;; [unrolled: 1-line block ×4, first 2 shown]
	v_fma_f64 v[96:97], v[173:174], s[16:17], v[179:180]
	v_fma_f64 v[100:101], v[136:137], s[16:17], -v[189:190]
	v_fma_f64 v[169:170], v[173:174], s[24:25], -v[191:192]
	v_fma_f64 v[175:176], v[136:137], s[24:25], v[193:194]
	v_mul_f64 v[179:180], v[181:182], s[30:31]
	v_mul_f64 v[189:190], v[183:184], s[30:31]
	s_waitcnt lgkmcnt(0)
	; wave barrier
	v_add_f64 v[86:87], v[96:97], v[86:87]
	v_add_f64 v[90:91], v[100:101], v[90:91]
	;; [unrolled: 1-line block ×4, first 2 shown]
	v_fma_f64 v[98:99], v[173:174], s[24:25], v[191:192]
	v_fma_f64 v[100:101], v[136:137], s[24:25], -v[193:194]
	v_fma_f64 v[169:170], v[173:174], s[6:7], -v[179:180]
	v_mul_f64 v[191:192], v[181:182], s[22:23]
	v_mul_f64 v[193:194], v[183:184], s[22:23]
	v_fma_f64 v[175:176], v[136:137], s[6:7], v[189:190]
	v_fma_f64 v[179:180], v[173:174], s[6:7], v[179:180]
	v_fma_f64 v[189:190], v[136:137], s[6:7], -v[189:190]
	v_add_f64 v[98:99], v[98:99], v[157:158]
	v_add_f64 v[100:101], v[100:101], v[159:160]
	v_add_f64 v[157:158], v[169:170], v[163:164]
	v_fma_f64 v[163:164], v[173:174], s[10:11], -v[191:192]
	v_fma_f64 v[169:170], v[136:137], s[10:11], v[193:194]
	v_add_f64 v[159:160], v[175:176], v[177:178]
	v_mul_f64 v[175:176], v[181:182], s[18:19]
	v_mul_f64 v[177:178], v[183:184], s[18:19]
	v_add_f64 v[106:107], v[179:180], v[106:107]
	v_add_f64 v[153:154], v[189:190], v[153:154]
	v_fma_f64 v[179:180], v[173:174], s[10:11], v[191:192]
	v_add_f64 v[163:164], v[163:164], v[165:166]
	v_add_f64 v[165:166], v[169:170], v[167:168]
	v_add_f64 v[167:168], v[78:79], -v[88:89]
	v_add_f64 v[169:170], v[76:77], -v[84:85]
	v_fma_f64 v[181:182], v[136:137], s[10:11], -v[193:194]
	v_fma_f64 v[183:184], v[173:174], s[20:21], -v[175:176]
	v_fma_f64 v[189:190], v[136:137], s[20:21], v[177:178]
	v_add_f64 v[76:77], v[76:77], v[84:85]
	v_add_f64 v[78:79], v[78:79], v[88:89]
	v_fma_f64 v[173:174], v[173:174], s[20:21], v[175:176]
	v_mul_f64 v[84:85], v[167:168], s[18:19]
	v_mul_f64 v[88:89], v[169:170], s[18:19]
	v_fma_f64 v[136:137], v[136:137], s[20:21], -v[177:178]
	v_mul_f64 v[175:176], v[167:168], s[34:35]
	v_mul_f64 v[177:178], v[169:170], s[34:35]
	v_add_f64 v[155:156], v[179:180], v[155:156]
	v_add_f64 v[179:180], v[183:184], v[185:186]
	;; [unrolled: 1-line block ×3, first 2 shown]
	v_fma_f64 v[183:184], v[76:77], s[20:21], -v[84:85]
	v_fma_f64 v[185:186], v[78:79], s[20:21], v[88:89]
	v_fma_f64 v[84:85], v[76:77], s[20:21], v[84:85]
	v_fma_f64 v[88:89], v[78:79], s[20:21], -v[88:89]
	v_add_f64 v[12:13], v[136:137], v[12:13]
	v_fma_f64 v[136:137], v[76:77], s[16:17], -v[175:176]
	v_fma_f64 v[173:174], v[78:79], s[16:17], v[177:178]
	v_add_f64 v[161:162], v[181:182], v[161:162]
	v_add_f64 v[80:81], v[183:184], v[80:81]
	v_add_f64 v[82:83], v[185:186], v[82:83]
	v_add_f64 v[84:85], v[84:85], v[86:87]
	v_add_f64 v[86:87], v[88:89], v[90:91]
	v_mul_f64 v[88:89], v[167:168], s[22:23]
	v_mul_f64 v[90:91], v[169:170], s[22:23]
	v_add_f64 v[92:93], v[136:137], v[92:93]
	v_add_f64 v[96:97], v[173:174], v[96:97]
	v_fma_f64 v[136:137], v[76:77], s[16:17], v[175:176]
	v_fma_f64 v[173:174], v[78:79], s[16:17], -v[177:178]
	v_mul_f64 v[175:176], v[167:168], s[26:27]
	v_mul_f64 v[177:178], v[169:170], s[26:27]
	v_fma_f64 v[183:184], v[76:77], s[10:11], -v[88:89]
	v_fma_f64 v[185:186], v[78:79], s[10:11], v[90:91]
	v_fma_f64 v[88:89], v[76:77], s[10:11], v[88:89]
	v_fma_f64 v[90:91], v[78:79], s[10:11], -v[90:91]
	v_add_f64 v[98:99], v[136:137], v[98:99]
	v_add_f64 v[100:101], v[173:174], v[100:101]
	v_fma_f64 v[136:137], v[76:77], s[24:25], -v[175:176]
	v_fma_f64 v[173:174], v[78:79], s[24:25], v[177:178]
	v_add_f64 v[181:182], v[189:190], v[187:188]
	v_add_f64 v[157:158], v[183:184], v[157:158]
	;; [unrolled: 1-line block ×4, first 2 shown]
	v_mul_f64 v[106:107], v[167:168], s[30:31]
	v_mul_f64 v[153:154], v[169:170], s[30:31]
	v_add_f64 v[136:137], v[136:137], v[163:164]
	v_add_f64 v[163:164], v[173:174], v[165:166]
	v_add_f64 v[169:170], v[66:67], -v[74:75]
	v_add_f64 v[173:174], v[64:65], -v[68:69]
	v_fma_f64 v[165:166], v[76:77], s[24:25], v[175:176]
	v_fma_f64 v[167:168], v[78:79], s[24:25], -v[177:178]
	v_fma_f64 v[175:176], v[76:77], s[6:7], -v[106:107]
	v_fma_f64 v[177:178], v[78:79], s[6:7], v[153:154]
	v_fma_f64 v[76:77], v[76:77], s[6:7], v[106:107]
	v_fma_f64 v[78:79], v[78:79], s[6:7], -v[153:154]
	v_add_f64 v[106:107], v[64:65], v[68:69]
	v_add_f64 v[153:154], v[66:67], v[74:75]
	v_mul_f64 v[64:65], v[169:170], s[26:27]
	v_mul_f64 v[66:67], v[173:174], s[26:27]
	v_add_f64 v[155:156], v[165:166], v[155:156]
	v_add_f64 v[161:162], v[167:168], v[161:162]
	;; [unrolled: 1-line block ×6, first 2 shown]
	v_fma_f64 v[8:9], v[106:107], s[24:25], -v[64:65]
	v_fma_f64 v[12:13], v[153:154], s[24:25], v[66:67]
	v_fma_f64 v[66:67], v[153:154], s[24:25], -v[66:67]
	v_add_f64 v[76:77], v[10:11], v[94:95]
	v_fma_f64 v[68:69], v[106:107], s[24:25], v[64:65]
	v_add_f64 v[78:79], v[14:15], v[102:103]
	v_mul_f64 v[179:180], v[169:170], s[28:29]
	v_mul_f64 v[181:182], v[173:174], s[28:29]
	v_add_f64 v[64:65], v[8:9], v[80:81]
	v_add_f64 v[74:75], v[12:13], v[82:83]
	;; [unrolled: 1-line block ×6, first 2 shown]
	v_fma_f64 v[76:77], v[106:107], s[10:11], -v[179:180]
	v_fma_f64 v[78:79], v[153:154], s[10:11], v[181:182]
	v_mul_f64 v[80:81], v[169:170], s[18:19]
	v_mul_f64 v[84:85], v[173:174], s[18:19]
	v_fma_f64 v[82:83], v[106:107], s[10:11], v[179:180]
	v_fma_f64 v[86:87], v[153:154], s[10:11], -v[181:182]
	v_add_f64 v[179:180], v[66:67], v[112:113]
	v_add_f64 v[159:160], v[185:186], v[159:160]
	;; [unrolled: 1-line block ×5, first 2 shown]
	v_fma_f64 v[78:79], v[106:107], s[20:21], -v[80:81]
	v_fma_f64 v[92:93], v[153:154], s[20:21], v[84:85]
	v_add_f64 v[68:69], v[82:83], v[98:99]
	v_add_f64 v[82:83], v[86:87], v[100:101]
	v_add_f64 v[86:87], v[179:180], v[70:71]
	v_add_f64 v[96:97], v[181:182], v[72:73]
	v_fma_f64 v[80:81], v[106:107], s[20:21], v[80:81]
	v_fma_f64 v[98:99], v[153:154], s[20:21], -v[84:85]
	v_add_f64 v[78:79], v[78:79], v[157:158]
	v_add_f64 v[84:85], v[92:93], v[159:160]
	v_mul_f64 v[92:93], v[169:170], s[30:31]
	v_mul_f64 v[100:101], v[173:174], s[30:31]
	v_add_f64 v[157:158], v[86:87], v[60:61]
	v_add_f64 v[96:97], v[96:97], v[62:63]
	v_add_f64 v[80:81], v[80:81], v[88:89]
	v_add_f64 v[86:87], v[98:99], v[90:91]
	v_mul_f64 v[159:160], v[169:170], s[14:15]
	v_mul_f64 v[169:170], v[173:174], s[14:15]
	v_fma_f64 v[88:89], v[106:107], s[6:7], -v[92:93]
	v_fma_f64 v[90:91], v[153:154], s[6:7], v[100:101]
	v_add_f64 v[98:99], v[157:158], v[56:57]
	v_fma_f64 v[92:93], v[106:107], s[6:7], v[92:93]
	v_fma_f64 v[100:101], v[153:154], s[6:7], -v[100:101]
	v_add_f64 v[157:158], v[96:97], v[58:59]
	v_fma_f64 v[173:174], v[106:107], s[16:17], -v[159:160]
	v_fma_f64 v[179:180], v[153:154], s[16:17], v[169:170]
	v_add_f64 v[96:97], v[88:89], v[136:137]
	v_add_f64 v[88:89], v[90:91], v[163:164]
	;; [unrolled: 1-line block ×5, first 2 shown]
	v_add_f64 v[155:156], v[102:103], -v[128:129]
	v_add_f64 v[161:162], v[94:95], -v[104:105]
	v_add_f64 v[100:101], v[173:174], v[165:166]
	v_add_f64 v[92:93], v[179:180], v[167:168]
	v_fma_f64 v[106:107], v[106:107], s[16:17], v[159:160]
	v_add_f64 v[136:137], v[136:137], v[116:117]
	v_add_f64 v[159:160], v[94:95], v[104:105]
	;; [unrolled: 1-line block ×3, first 2 shown]
	v_mul_f64 v[165:166], v[155:156], s[22:23]
	v_mul_f64 v[167:168], v[161:162], s[22:23]
	v_add_f64 v[157:158], v[157:158], v[110:111]
	v_fma_f64 v[153:154], v[153:154], s[16:17], -v[169:170]
	v_add_f64 v[102:103], v[106:107], v[175:176]
	v_add_f64 v[136:137], v[136:137], v[124:125]
	v_mul_f64 v[169:170], v[161:162], s[36:37]
	v_mul_f64 v[183:184], v[155:156], s[18:19]
	v_fma_f64 v[173:174], v[159:160], s[10:11], -v[165:166]
	v_fma_f64 v[175:176], v[163:164], s[10:11], v[167:168]
	v_add_f64 v[157:158], v[157:158], v[118:119]
	v_add_f64 v[94:95], v[153:154], v[177:178]
	v_mul_f64 v[153:154], v[155:156], s[36:37]
	v_add_f64 v[106:107], v[136:137], v[104:105]
	v_fma_f64 v[136:137], v[163:164], s[10:11], -v[167:168]
	v_mul_f64 v[177:178], v[161:162], s[14:15]
	v_add_f64 v[167:168], v[10:11], v[173:174]
	v_add_f64 v[173:174], v[14:15], v[175:176]
	v_mul_f64 v[175:176], v[155:156], s[14:15]
	v_mul_f64 v[185:186], v[161:162], s[18:19]
	;; [unrolled: 1-line block ×4, first 2 shown]
	v_add_f64 v[191:192], v[122:123], -v[126:127]
	v_add_f64 v[193:194], v[120:121], -v[124:125]
	v_add_f64 v[157:158], v[157:158], v[126:127]
	v_add_f64 v[120:121], v[120:121], v[124:125]
	;; [unrolled: 1-line block ×3, first 2 shown]
	v_fma_f64 v[179:180], v[159:160], s[16:17], -v[175:176]
	v_fma_f64 v[195:196], v[159:160], s[24:25], -v[155:156]
	v_fma_f64 v[197:198], v[163:164], s[24:25], v[161:162]
	v_mul_f64 v[124:125], v[191:192], s[36:37]
	v_mul_f64 v[126:127], v[193:194], s[36:37]
	v_add_f64 v[104:105], v[157:158], v[128:129]
	v_fma_f64 v[128:129], v[159:160], s[10:11], v[165:166]
	v_fma_f64 v[157:158], v[159:160], s[6:7], -v[153:154]
	v_fma_f64 v[165:166], v[163:164], s[6:7], v[169:170]
	v_fma_f64 v[153:154], v[159:160], s[6:7], v[153:154]
	v_fma_f64 v[169:170], v[163:164], s[6:7], -v[169:170]
	v_fma_f64 v[181:182], v[163:164], s[16:17], v[177:178]
	v_fma_f64 v[175:176], v[159:160], s[16:17], v[175:176]
	v_fma_f64 v[177:178], v[163:164], s[16:17], -v[177:178]
	v_fma_f64 v[187:188], v[159:160], s[20:21], -v[183:184]
	v_fma_f64 v[189:190], v[163:164], s[20:21], v[185:186]
	v_fma_f64 v[183:184], v[159:160], s[20:21], v[183:184]
	v_fma_f64 v[185:186], v[163:164], s[20:21], -v[185:186]
	v_fma_f64 v[155:156], v[159:160], s[24:25], v[155:156]
	v_fma_f64 v[159:160], v[163:164], s[24:25], -v[161:162]
	v_add_f64 v[161:162], v[10:11], v[195:196]
	v_add_f64 v[163:164], v[14:15], v[197:198]
	v_mul_f64 v[195:196], v[191:192], s[18:19]
	v_mul_f64 v[197:198], v[193:194], s[18:19]
	v_fma_f64 v[199:200], v[120:121], s[6:7], -v[124:125]
	v_fma_f64 v[201:202], v[122:123], s[6:7], v[126:127]
	v_add_f64 v[128:129], v[10:11], v[128:129]
	v_add_f64 v[136:137], v[14:15], v[136:137]
	;; [unrolled: 1-line block ×16, first 2 shown]
	v_fma_f64 v[124:125], v[120:121], s[6:7], v[124:125]
	v_fma_f64 v[126:127], v[122:123], s[6:7], -v[126:127]
	v_fma_f64 v[155:156], v[120:121], s[20:21], -v[195:196]
	v_fma_f64 v[159:160], v[122:123], s[20:21], v[197:198]
	v_add_f64 v[167:168], v[199:200], v[167:168]
	v_add_f64 v[173:174], v[201:202], v[173:174]
	v_mul_f64 v[199:200], v[191:192], s[38:39]
	v_mul_f64 v[201:202], v[193:194], s[38:39]
	v_add_f64 v[124:125], v[124:125], v[128:129]
	v_add_f64 v[126:127], v[126:127], v[136:137]
	;; [unrolled: 1-line block ×4, first 2 shown]
	v_fma_f64 v[155:156], v[120:121], s[20:21], v[195:196]
	v_fma_f64 v[157:158], v[122:123], s[20:21], -v[197:198]
	v_fma_f64 v[159:160], v[120:121], s[24:25], -v[199:200]
	v_fma_f64 v[165:166], v[122:123], s[24:25], v[201:202]
	v_mul_f64 v[195:196], v[191:192], s[34:35]
	v_mul_f64 v[197:198], v[193:194], s[34:35]
	;; [unrolled: 1-line block ×4, first 2 shown]
	v_add_f64 v[153:154], v[155:156], v[153:154]
	v_add_f64 v[155:156], v[157:158], v[169:170]
	;; [unrolled: 1-line block ×4, first 2 shown]
	v_fma_f64 v[165:166], v[120:121], s[16:17], -v[195:196]
	v_fma_f64 v[169:170], v[122:123], s[16:17], v[197:198]
	v_fma_f64 v[179:180], v[120:121], s[16:17], v[195:196]
	v_fma_f64 v[181:182], v[122:123], s[16:17], -v[197:198]
	v_fma_f64 v[199:200], v[120:121], s[24:25], v[199:200]
	v_fma_f64 v[201:202], v[122:123], s[24:25], -v[201:202]
	v_add_f64 v[165:166], v[165:166], v[187:188]
	v_add_f64 v[169:170], v[169:170], v[189:190]
	v_add_f64 v[187:188], v[114:115], -v[118:119]
	v_add_f64 v[189:190], v[112:113], -v[116:117]
	v_add_f64 v[179:180], v[179:180], v[183:184]
	v_add_f64 v[181:182], v[181:182], v[185:186]
	v_fma_f64 v[183:184], v[120:121], s[10:11], -v[191:192]
	v_fma_f64 v[185:186], v[122:123], s[10:11], v[193:194]
	v_add_f64 v[112:113], v[112:113], v[116:117]
	v_add_f64 v[114:115], v[114:115], v[118:119]
	v_mul_f64 v[116:117], v[187:188], s[14:15]
	v_mul_f64 v[118:119], v[189:190], s[14:15]
	v_fma_f64 v[120:121], v[120:121], s[10:11], v[191:192]
	v_fma_f64 v[122:123], v[122:123], s[10:11], -v[193:194]
	v_add_f64 v[161:162], v[183:184], v[161:162]
	v_add_f64 v[163:164], v[185:186], v[163:164]
	v_mul_f64 v[183:184], v[187:188], s[38:39]
	v_mul_f64 v[185:186], v[189:190], s[38:39]
	v_fma_f64 v[191:192], v[112:113], s[16:17], -v[116:117]
	v_fma_f64 v[193:194], v[114:115], s[16:17], v[118:119]
	v_fma_f64 v[116:117], v[112:113], s[16:17], v[116:117]
	v_fma_f64 v[118:119], v[114:115], s[16:17], -v[118:119]
	v_add_f64 v[10:11], v[120:121], v[10:11]
	v_add_f64 v[14:15], v[122:123], v[14:15]
	v_fma_f64 v[120:121], v[112:113], s[24:25], -v[183:184]
	v_fma_f64 v[122:123], v[114:115], s[24:25], v[185:186]
	v_add_f64 v[167:168], v[191:192], v[167:168]
	v_add_f64 v[173:174], v[193:194], v[173:174]
	;; [unrolled: 1-line block ×4, first 2 shown]
	v_fma_f64 v[124:125], v[112:113], s[24:25], v[183:184]
	v_fma_f64 v[126:127], v[114:115], s[24:25], -v[185:186]
	v_mul_f64 v[183:184], v[187:188], s[22:23]
	v_mul_f64 v[185:186], v[189:190], s[22:23]
	v_mul_f64 v[191:192], v[187:188], s[30:31]
	v_mul_f64 v[193:194], v[189:190], s[30:31]
	v_add_f64 v[175:176], v[199:200], v[175:176]
	v_add_f64 v[177:178], v[201:202], v[177:178]
	v_add_f64 v[124:125], v[124:125], v[153:154]
	v_add_f64 v[126:127], v[126:127], v[155:156]
	v_fma_f64 v[153:154], v[112:113], s[10:11], -v[183:184]
	v_fma_f64 v[155:156], v[114:115], s[10:11], v[185:186]
	v_add_f64 v[120:121], v[120:121], v[128:129]
	v_add_f64 v[122:123], v[122:123], v[136:137]
	v_fma_f64 v[128:129], v[112:113], s[6:7], -v[191:192]
	v_fma_f64 v[136:137], v[114:115], s[6:7], v[193:194]
	v_fma_f64 v[191:192], v[112:113], s[6:7], v[191:192]
	v_fma_f64 v[193:194], v[114:115], s[6:7], -v[193:194]
	v_add_f64 v[153:154], v[153:154], v[165:166]
	v_add_f64 v[155:156], v[155:156], v[169:170]
	v_add_f64 v[165:166], v[72:73], -v[110:111]
	v_add_f64 v[169:170], v[70:71], -v[108:109]
	v_add_f64 v[128:129], v[128:129], v[157:158]
	v_add_f64 v[136:137], v[136:137], v[159:160]
	;; [unrolled: 1-line block ×4, first 2 shown]
	v_mul_f64 v[175:176], v[187:188], s[18:19]
	v_mul_f64 v[177:178], v[189:190], s[18:19]
	v_fma_f64 v[183:184], v[112:113], s[10:11], v[183:184]
	v_fma_f64 v[185:186], v[114:115], s[10:11], -v[185:186]
	v_add_f64 v[70:71], v[70:71], v[108:109]
	v_add_f64 v[72:73], v[72:73], v[110:111]
	v_mul_f64 v[108:109], v[165:166], s[18:19]
	v_mul_f64 v[110:111], v[169:170], s[18:19]
	v_fma_f64 v[187:188], v[112:113], s[20:21], -v[175:176]
	v_fma_f64 v[189:190], v[114:115], s[20:21], v[177:178]
	v_add_f64 v[179:180], v[183:184], v[179:180]
	v_add_f64 v[181:182], v[185:186], v[181:182]
	v_fma_f64 v[112:113], v[112:113], s[20:21], v[175:176]
	v_fma_f64 v[114:115], v[114:115], s[20:21], -v[177:178]
	v_mul_f64 v[175:176], v[165:166], s[34:35]
	v_mul_f64 v[177:178], v[169:170], s[34:35]
	v_fma_f64 v[183:184], v[70:71], s[20:21], -v[108:109]
	v_fma_f64 v[185:186], v[72:73], s[20:21], v[110:111]
	v_fma_f64 v[108:109], v[70:71], s[20:21], v[108:109]
	v_fma_f64 v[110:111], v[72:73], s[20:21], -v[110:111]
	v_add_f64 v[10:11], v[112:113], v[10:11]
	v_add_f64 v[14:15], v[114:115], v[14:15]
	v_fma_f64 v[112:113], v[70:71], s[16:17], -v[175:176]
	v_fma_f64 v[114:115], v[72:73], s[16:17], v[177:178]
	v_add_f64 v[167:168], v[183:184], v[167:168]
	v_add_f64 v[173:174], v[185:186], v[173:174]
	;; [unrolled: 1-line block ×4, first 2 shown]
	v_mul_f64 v[108:109], v[165:166], s[22:23]
	v_mul_f64 v[118:119], v[169:170], s[22:23]
	v_add_f64 v[112:113], v[112:113], v[120:121]
	v_add_f64 v[114:115], v[114:115], v[122:123]
	v_fma_f64 v[120:121], v[70:71], s[16:17], v[175:176]
	v_fma_f64 v[122:123], v[72:73], s[16:17], -v[177:178]
	v_mul_f64 v[175:176], v[165:166], s[26:27]
	v_mul_f64 v[177:178], v[169:170], s[26:27]
	v_fma_f64 v[183:184], v[70:71], s[10:11], -v[108:109]
	v_fma_f64 v[185:186], v[72:73], s[10:11], v[118:119]
	v_fma_f64 v[108:109], v[70:71], s[10:11], v[108:109]
	v_fma_f64 v[118:119], v[72:73], s[10:11], -v[118:119]
	v_add_f64 v[120:121], v[120:121], v[124:125]
	v_add_f64 v[122:123], v[122:123], v[126:127]
	v_fma_f64 v[124:125], v[70:71], s[24:25], -v[175:176]
	v_fma_f64 v[126:127], v[72:73], s[24:25], v[177:178]
	v_add_f64 v[161:162], v[187:188], v[161:162]
	v_add_f64 v[128:129], v[183:184], v[128:129]
	;; [unrolled: 1-line block ×4, first 2 shown]
	v_mul_f64 v[108:109], v[165:166], s[30:31]
	v_mul_f64 v[159:160], v[169:170], s[30:31]
	v_add_f64 v[165:166], v[62:63], -v[58:59]
	v_add_f64 v[169:170], v[60:61], -v[56:57]
	v_add_f64 v[124:125], v[124:125], v[153:154]
	v_add_f64 v[126:127], v[126:127], v[155:156]
	v_fma_f64 v[153:154], v[70:71], s[24:25], v[175:176]
	v_fma_f64 v[155:156], v[72:73], s[24:25], -v[177:178]
	v_fma_f64 v[175:176], v[70:71], s[6:7], -v[108:109]
	v_fma_f64 v[177:178], v[72:73], s[6:7], v[159:160]
	v_fma_f64 v[70:71], v[70:71], s[6:7], v[108:109]
	v_fma_f64 v[72:73], v[72:73], s[6:7], -v[159:160]
	v_add_f64 v[159:160], v[60:61], v[56:57]
	v_add_f64 v[183:184], v[62:63], v[58:59]
	v_mul_f64 v[56:57], v[165:166], s[26:27]
	v_mul_f64 v[58:59], v[169:170], s[26:27]
	v_add_f64 v[163:164], v[189:190], v[163:164]
	v_add_f64 v[161:162], v[175:176], v[161:162]
	;; [unrolled: 1-line block ×6, first 2 shown]
	v_fma_f64 v[10:11], v[159:160], s[24:25], -v[56:57]
	v_fma_f64 v[14:15], v[183:184], s[24:25], v[58:59]
	v_fma_f64 v[60:61], v[159:160], s[24:25], v[56:57]
	v_fma_f64 v[58:59], v[183:184], s[24:25], -v[58:59]
	v_add_f64 v[153:154], v[153:154], v[179:180]
	v_add_f64 v[163:164], v[177:178], v[163:164]
	v_mul_f64 v[177:178], v[165:166], s[28:29]
	v_mul_f64 v[179:180], v[169:170], s[28:29]
	v_add_f64 v[56:57], v[10:11], v[167:168]
	v_add_f64 v[108:109], v[14:15], v[173:174]
	;; [unrolled: 1-line block ×6, first 2 shown]
	v_fma_f64 v[62:63], v[159:160], s[10:11], -v[177:178]
	v_fma_f64 v[110:111], v[183:184], s[10:11], v[179:180]
	v_mul_f64 v[116:117], v[165:166], s[18:19]
	v_mul_f64 v[167:168], v[169:170], s[18:19]
	v_fma_f64 v[173:174], v[159:160], s[10:11], v[177:178]
	v_fma_f64 v[175:176], v[183:184], s[10:11], -v[179:180]
	v_add_f64 v[177:178], v[58:59], v[36:37]
	v_add_f64 v[179:180], v[60:61], v[38:39]
	;; [unrolled: 1-line block ×5, first 2 shown]
	v_fma_f64 v[62:63], v[159:160], s[20:21], -v[116:117]
	v_fma_f64 v[114:115], v[183:184], s[20:21], v[167:168]
	v_add_f64 v[60:61], v[173:174], v[120:121]
	v_add_f64 v[112:113], v[175:176], v[122:123]
	;; [unrolled: 1-line block ×4, first 2 shown]
	v_fma_f64 v[116:117], v[159:160], s[20:21], v[116:117]
	v_fma_f64 v[167:168], v[183:184], s[20:21], -v[167:168]
	v_add_f64 v[62:63], v[62:63], v[128:129]
	v_add_f64 v[114:115], v[114:115], v[136:137]
	v_mul_f64 v[128:129], v[165:166], s[30:31]
	v_mul_f64 v[136:137], v[169:170], s[30:31]
	v_add_f64 v[120:121], v[120:121], v[18:19]
	v_add_f64 v[122:123], v[122:123], v[20:21]
	;; [unrolled: 1-line block ×4, first 2 shown]
	v_mul_f64 v[167:168], v[169:170], s[14:15]
	v_add_f64 v[155:156], v[155:156], v[181:182]
	v_mul_f64 v[165:166], v[165:166], s[14:15]
	v_fma_f64 v[118:119], v[159:160], s[6:7], -v[128:129]
	v_fma_f64 v[169:170], v[183:184], s[6:7], v[136:137]
	v_add_f64 v[120:121], v[120:121], v[24:25]
	v_add_f64 v[122:123], v[122:123], v[26:27]
	v_fma_f64 v[128:129], v[159:160], s[6:7], v[128:129]
	v_fma_f64 v[136:137], v[183:184], s[6:7], -v[136:137]
	v_fma_f64 v[175:176], v[183:184], s[16:17], v[167:168]
	v_fma_f64 v[173:174], v[159:160], s[16:17], -v[165:166]
	v_add_f64 v[124:125], v[118:119], v[124:125]
	v_add_f64 v[118:119], v[169:170], v[126:127]
	;; [unrolled: 1-line block ×7, first 2 shown]
	v_add_f64 v[153:154], v[50:51], -v[54:55]
	v_add_f64 v[155:156], v[48:49], -v[52:53]
	v_fma_f64 v[159:160], v[159:160], s[16:17], v[165:166]
	v_fma_f64 v[163:164], v[183:184], s[16:17], -v[167:168]
	v_add_f64 v[136:137], v[173:174], v[161:162]
	v_add_f64 v[126:127], v[126:127], v[16:17]
	;; [unrolled: 1-line block ×5, first 2 shown]
	v_mul_f64 v[165:166], v[153:154], s[22:23]
	v_mul_f64 v[167:168], v[155:156], s[22:23]
	v_add_f64 v[70:71], v[159:160], v[70:71]
	v_add_f64 v[159:160], v[163:164], v[72:73]
	v_mul_f64 v[72:73], v[153:154], s[36:37]
	v_mul_f64 v[163:164], v[155:156], s[36:37]
	v_mul_f64 v[175:176], v[153:154], s[14:15]
	v_mul_f64 v[177:178], v[155:156], s[14:15]
	v_mul_f64 v[183:184], v[153:154], s[18:19]
	v_mul_f64 v[185:186], v[155:156], s[18:19]
	v_mul_f64 v[153:154], v[153:154], s[26:27]
	v_mul_f64 v[155:156], v[155:156], s[26:27]
	v_add_f64 v[191:192], v[44:45], -v[46:47]
	v_add_f64 v[193:194], v[42:43], -v[22:23]
	v_add_f64 v[126:127], v[126:127], v[22:23]
	v_add_f64 v[161:162], v[161:162], v[46:47]
	v_fma_f64 v[169:170], v[48:49], s[10:11], -v[165:166]
	v_fma_f64 v[173:174], v[50:51], s[10:11], v[167:168]
	v_fma_f64 v[195:196], v[48:49], s[24:25], -v[153:154]
	v_fma_f64 v[197:198], v[50:51], s[24:25], v[155:156]
	v_add_f64 v[22:23], v[42:43], v[22:23]
	v_add_f64 v[42:43], v[44:45], v[46:47]
	v_mul_f64 v[44:45], v[191:192], s[36:37]
	v_mul_f64 v[46:47], v[193:194], s[36:37]
	v_add_f64 v[52:53], v[126:127], v[52:53]
	v_add_f64 v[126:127], v[161:162], v[54:55]
	v_fma_f64 v[54:55], v[48:49], s[10:11], v[165:166]
	v_fma_f64 v[161:162], v[50:51], s[10:11], -v[167:168]
	v_fma_f64 v[165:166], v[48:49], s[6:7], -v[72:73]
	v_fma_f64 v[167:168], v[50:51], s[6:7], v[163:164]
	v_add_f64 v[169:170], v[0:1], v[169:170]
	v_add_f64 v[173:174], v[4:5], v[173:174]
	v_fma_f64 v[72:73], v[48:49], s[6:7], v[72:73]
	v_fma_f64 v[163:164], v[50:51], s[6:7], -v[163:164]
	v_fma_f64 v[179:180], v[48:49], s[16:17], -v[175:176]
	v_fma_f64 v[181:182], v[50:51], s[16:17], v[177:178]
	v_fma_f64 v[175:176], v[48:49], s[16:17], v[175:176]
	v_fma_f64 v[177:178], v[50:51], s[16:17], -v[177:178]
	v_fma_f64 v[187:188], v[48:49], s[20:21], -v[183:184]
	v_fma_f64 v[189:190], v[50:51], s[20:21], v[185:186]
	v_fma_f64 v[183:184], v[48:49], s[20:21], v[183:184]
	v_fma_f64 v[185:186], v[50:51], s[20:21], -v[185:186]
	v_fma_f64 v[48:49], v[48:49], s[24:25], v[153:154]
	v_fma_f64 v[50:51], v[50:51], s[24:25], -v[155:156]
	v_add_f64 v[153:154], v[0:1], v[195:196]
	v_add_f64 v[155:156], v[4:5], v[197:198]
	v_mul_f64 v[195:196], v[191:192], s[18:19]
	v_mul_f64 v[197:198], v[193:194], s[18:19]
	v_fma_f64 v[199:200], v[22:23], s[6:7], -v[44:45]
	v_fma_f64 v[201:202], v[42:43], s[6:7], v[46:47]
	v_add_f64 v[54:55], v[0:1], v[54:55]
	v_add_f64 v[161:162], v[4:5], v[161:162]
	;; [unrolled: 1-line block ×16, first 2 shown]
	v_fma_f64 v[44:45], v[22:23], s[6:7], v[44:45]
	v_fma_f64 v[46:47], v[42:43], s[6:7], -v[46:47]
	v_fma_f64 v[48:49], v[22:23], s[20:21], -v[195:196]
	v_fma_f64 v[50:51], v[42:43], s[20:21], v[197:198]
	v_add_f64 v[169:170], v[199:200], v[169:170]
	v_add_f64 v[173:174], v[201:202], v[173:174]
	v_mul_f64 v[199:200], v[191:192], s[38:39]
	v_mul_f64 v[201:202], v[193:194], s[38:39]
	v_add_f64 v[44:45], v[44:45], v[54:55]
	v_add_f64 v[46:47], v[46:47], v[161:162]
	;; [unrolled: 1-line block ×4, first 2 shown]
	v_fma_f64 v[54:55], v[22:23], s[20:21], v[195:196]
	v_fma_f64 v[161:162], v[42:43], s[20:21], -v[197:198]
	v_fma_f64 v[165:166], v[22:23], s[24:25], -v[199:200]
	v_fma_f64 v[167:168], v[42:43], s[24:25], v[201:202]
	v_mul_f64 v[195:196], v[191:192], s[34:35]
	v_mul_f64 v[197:198], v[193:194], s[34:35]
	;; [unrolled: 1-line block ×4, first 2 shown]
	v_add_f64 v[54:55], v[54:55], v[72:73]
	v_add_f64 v[72:73], v[161:162], v[163:164]
	;; [unrolled: 1-line block ×4, first 2 shown]
	v_fma_f64 v[165:166], v[22:23], s[16:17], -v[195:196]
	v_fma_f64 v[167:168], v[42:43], s[16:17], v[197:198]
	v_fma_f64 v[179:180], v[22:23], s[16:17], v[195:196]
	v_fma_f64 v[181:182], v[42:43], s[16:17], -v[197:198]
	v_fma_f64 v[199:200], v[22:23], s[24:25], v[199:200]
	v_fma_f64 v[201:202], v[42:43], s[24:25], -v[201:202]
	ds_write2_b64 v133, v[2:3], v[64:65] offset1:51
	ds_write2_b64 v133, v[66:67], v[78:79] offset0:102 offset1:153
	ds_write2_b64 v133, v[96:97], v[100:101] offset0:204 offset1:255
	;; [unrolled: 1-line block ×10, first 2 shown]
	v_add_f64 v[165:166], v[165:166], v[187:188]
	v_add_f64 v[167:168], v[167:168], v[189:190]
	v_add_f64 v[187:188], v[38:39], -v[40:41]
	v_add_f64 v[189:190], v[36:37], -v[16:17]
	v_add_f64 v[179:180], v[179:180], v[183:184]
	v_add_f64 v[181:182], v[181:182], v[185:186]
	v_fma_f64 v[183:184], v[22:23], s[10:11], -v[191:192]
	v_fma_f64 v[185:186], v[42:43], s[10:11], v[193:194]
	v_add_f64 v[16:17], v[36:37], v[16:17]
	v_add_f64 v[36:37], v[38:39], v[40:41]
	v_mul_f64 v[38:39], v[187:188], s[14:15]
	v_mul_f64 v[40:41], v[189:190], s[14:15]
	v_fma_f64 v[22:23], v[22:23], s[10:11], v[191:192]
	v_fma_f64 v[42:43], v[42:43], s[10:11], -v[193:194]
	v_add_f64 v[153:154], v[183:184], v[153:154]
	v_add_f64 v[155:156], v[185:186], v[155:156]
	v_mul_f64 v[183:184], v[187:188], s[38:39]
	v_mul_f64 v[185:186], v[189:190], s[38:39]
	v_fma_f64 v[191:192], v[16:17], s[16:17], -v[38:39]
	v_fma_f64 v[193:194], v[36:37], s[16:17], v[40:41]
	v_add_f64 v[0:1], v[22:23], v[0:1]
	v_fma_f64 v[22:23], v[16:17], s[16:17], v[38:39]
	v_fma_f64 v[38:39], v[36:37], s[16:17], -v[40:41]
	v_add_f64 v[4:5], v[42:43], v[4:5]
	v_fma_f64 v[40:41], v[16:17], s[24:25], -v[183:184]
	v_fma_f64 v[42:43], v[36:37], s[24:25], v[185:186]
	v_add_f64 v[169:170], v[191:192], v[169:170]
	v_add_f64 v[173:174], v[193:194], v[173:174]
	v_mul_f64 v[191:192], v[187:188], s[30:31]
	v_add_f64 v[22:23], v[22:23], v[44:45]
	v_add_f64 v[38:39], v[38:39], v[46:47]
	v_fma_f64 v[44:45], v[16:17], s[24:25], v[183:184]
	v_fma_f64 v[46:47], v[36:37], s[24:25], -v[185:186]
	v_mul_f64 v[183:184], v[187:188], s[22:23]
	v_mul_f64 v[185:186], v[189:190], s[22:23]
	;; [unrolled: 1-line block ×3, first 2 shown]
	v_add_f64 v[175:176], v[199:200], v[175:176]
	v_add_f64 v[177:178], v[201:202], v[177:178]
	v_add_f64 v[40:41], v[40:41], v[48:49]
	v_add_f64 v[44:45], v[44:45], v[54:55]
	v_add_f64 v[46:47], v[46:47], v[72:73]
	v_fma_f64 v[54:55], v[16:17], s[10:11], -v[183:184]
	v_fma_f64 v[72:73], v[36:37], s[10:11], v[185:186]
	v_fma_f64 v[183:184], v[16:17], s[10:11], v[183:184]
	v_fma_f64 v[185:186], v[36:37], s[10:11], -v[185:186]
	v_add_f64 v[42:43], v[42:43], v[50:51]
	v_fma_f64 v[48:49], v[16:17], s[6:7], -v[191:192]
	v_fma_f64 v[50:51], v[36:37], s[6:7], v[193:194]
	v_fma_f64 v[191:192], v[16:17], s[6:7], v[191:192]
	v_add_f64 v[54:55], v[54:55], v[165:166]
	v_add_f64 v[72:73], v[72:73], v[167:168]
	v_add_f64 v[165:166], v[30:31], -v[34:35]
	v_add_f64 v[167:168], v[28:29], -v[32:33]
	v_add_f64 v[28:29], v[28:29], v[32:33]
	v_add_f64 v[30:31], v[30:31], v[34:35]
	v_fma_f64 v[193:194], v[36:37], s[6:7], -v[193:194]
	v_add_f64 v[179:180], v[183:184], v[179:180]
	v_add_f64 v[181:182], v[185:186], v[181:182]
	;; [unrolled: 1-line block ×3, first 2 shown]
	v_mul_f64 v[32:33], v[165:166], s[18:19]
	v_mul_f64 v[34:35], v[167:168], s[18:19]
	v_add_f64 v[50:51], v[50:51], v[163:164]
	v_add_f64 v[161:162], v[191:192], v[175:176]
	;; [unrolled: 1-line block ×3, first 2 shown]
	v_mul_f64 v[175:176], v[187:188], s[18:19]
	v_mul_f64 v[177:178], v[189:190], s[18:19]
	v_fma_f64 v[183:184], v[28:29], s[20:21], -v[32:33]
	v_fma_f64 v[185:186], v[30:31], s[20:21], v[34:35]
	v_fma_f64 v[32:33], v[28:29], s[20:21], v[32:33]
	v_fma_f64 v[34:35], v[30:31], s[20:21], -v[34:35]
	v_fma_f64 v[187:188], v[16:17], s[20:21], -v[175:176]
	v_fma_f64 v[189:190], v[36:37], s[20:21], v[177:178]
	v_fma_f64 v[16:17], v[16:17], s[20:21], v[175:176]
	v_fma_f64 v[36:37], v[36:37], s[20:21], -v[177:178]
	v_mul_f64 v[175:176], v[165:166], s[34:35]
	v_add_f64 v[22:23], v[32:33], v[22:23]
	v_add_f64 v[32:33], v[34:35], v[38:39]
	v_mul_f64 v[38:39], v[167:168], s[22:23]
	v_mul_f64 v[34:35], v[165:166], s[22:23]
	;; [unrolled: 1-line block ×3, first 2 shown]
	v_add_f64 v[173:174], v[185:186], v[173:174]
	v_add_f64 v[169:170], v[183:184], v[169:170]
	;; [unrolled: 1-line block ×4, first 2 shown]
	v_fma_f64 v[16:17], v[28:29], s[16:17], -v[175:176]
	v_fma_f64 v[185:186], v[30:31], s[10:11], v[38:39]
	v_fma_f64 v[38:39], v[30:31], s[10:11], -v[38:39]
	v_fma_f64 v[183:184], v[28:29], s[10:11], -v[34:35]
	v_fma_f64 v[34:35], v[28:29], s[10:11], v[34:35]
	v_fma_f64 v[36:37], v[30:31], s[16:17], v[177:178]
	;; [unrolled: 1-line block ×3, first 2 shown]
	v_fma_f64 v[177:178], v[30:31], s[16:17], -v[177:178]
	v_add_f64 v[16:17], v[16:17], v[40:41]
	v_mul_f64 v[40:41], v[165:166], s[26:27]
	v_add_f64 v[38:39], v[38:39], v[163:164]
	v_add_f64 v[163:164], v[18:19], -v[24:25]
	v_add_f64 v[34:35], v[34:35], v[161:162]
	v_add_f64 v[161:162], v[20:21], -v[26:27]
	v_add_f64 v[36:37], v[36:37], v[42:43]
	v_mul_f64 v[42:43], v[167:168], s[26:27]
	v_mul_f64 v[165:166], v[165:166], s[30:31]
	v_mul_f64 v[167:168], v[167:168], s[30:31]
	v_add_f64 v[20:21], v[20:21], v[26:27]
	v_mul_f64 v[26:27], v[163:164], s[26:27]
	v_add_f64 v[18:19], v[18:19], v[24:25]
	v_mul_f64 v[24:25], v[161:162], s[26:27]
	v_add_f64 v[153:154], v[187:188], v[153:154]
	v_add_f64 v[155:156], v[189:190], v[155:156]
	v_fma_f64 v[189:190], v[30:31], s[24:25], v[42:43]
	v_add_f64 v[44:45], v[175:176], v[44:45]
	v_add_f64 v[46:47], v[177:178], v[46:47]
	v_fma_f64 v[42:43], v[30:31], s[24:25], -v[42:43]
	v_fma_f64 v[175:176], v[28:29], s[6:7], -v[165:166]
	v_fma_f64 v[177:178], v[30:31], s[6:7], v[167:168]
	v_fma_f64 v[30:31], v[30:31], s[6:7], -v[167:168]
	v_fma_f64 v[167:168], v[20:21], s[24:25], v[26:27]
	v_fma_f64 v[187:188], v[28:29], s[24:25], -v[40:41]
	v_fma_f64 v[40:41], v[28:29], s[24:25], v[40:41]
	v_fma_f64 v[28:29], v[28:29], s[6:7], v[165:166]
	v_fma_f64 v[165:166], v[18:19], s[24:25], -v[24:25]
	v_add_f64 v[153:154], v[175:176], v[153:154]
	v_add_f64 v[155:156], v[177:178], v[155:156]
	v_mul_f64 v[175:176], v[161:162], s[28:29]
	v_mul_f64 v[177:178], v[163:164], s[28:29]
	v_add_f64 v[4:5], v[30:31], v[4:5]
	v_add_f64 v[30:31], v[167:168], v[173:174]
	v_fma_f64 v[26:27], v[20:21], s[24:25], -v[26:27]
	v_mul_f64 v[173:174], v[163:164], s[18:19]
	v_add_f64 v[0:1], v[28:29], v[0:1]
	v_add_f64 v[28:29], v[165:166], v[169:170]
	v_fma_f64 v[24:25], v[18:19], s[24:25], v[24:25]
	v_mul_f64 v[169:170], v[161:162], s[18:19]
	v_add_f64 v[50:51], v[185:186], v[50:51]
	v_add_f64 v[40:41], v[40:41], v[179:180]
	v_fma_f64 v[165:166], v[18:19], s[10:11], -v[175:176]
	v_fma_f64 v[167:168], v[20:21], s[10:11], v[177:178]
	v_fma_f64 v[177:178], v[20:21], s[10:11], -v[177:178]
	v_add_f64 v[179:180], v[26:27], v[32:33]
	v_fma_f64 v[26:27], v[20:21], s[20:21], v[173:174]
	v_add_f64 v[48:49], v[183:184], v[48:49]
	v_fma_f64 v[175:176], v[18:19], s[10:11], v[175:176]
	v_add_f64 v[22:23], v[24:25], v[22:23]
	v_fma_f64 v[24:25], v[18:19], s[20:21], -v[169:170]
	v_add_f64 v[16:17], v[165:166], v[16:17]
	v_add_f64 v[36:37], v[167:168], v[36:37]
	;; [unrolled: 1-line block ×3, first 2 shown]
	v_fma_f64 v[46:47], v[20:21], s[20:21], -v[173:174]
	v_mul_f64 v[167:168], v[161:162], s[30:31]
	v_add_f64 v[173:174], v[26:27], v[50:51]
	v_mul_f64 v[26:27], v[161:162], s[14:15]
	v_add_f64 v[32:33], v[175:176], v[44:45]
	v_fma_f64 v[44:45], v[18:19], s[20:21], v[169:170]
	v_mul_f64 v[169:170], v[163:164], s[30:31]
	v_add_f64 v[24:25], v[24:25], v[48:49]
	v_mul_f64 v[48:49], v[163:164], s[14:15]
	v_add_f64 v[54:55], v[187:188], v[54:55]
	v_add_f64 v[161:162], v[46:47], v[38:39]
	v_fma_f64 v[38:39], v[18:19], s[6:7], -v[167:168]
	v_fma_f64 v[46:47], v[18:19], s[6:7], v[167:168]
	v_fma_f64 v[163:164], v[18:19], s[16:17], -v[26:27]
	v_fma_f64 v[18:19], v[18:19], s[16:17], v[26:27]
	v_add_f64 v[34:35], v[44:45], v[34:35]
	v_fma_f64 v[44:45], v[20:21], s[6:7], v[169:170]
	v_fma_f64 v[50:51], v[20:21], s[6:7], -v[169:170]
	v_fma_f64 v[167:168], v[20:21], s[16:17], v[48:49]
	v_fma_f64 v[20:21], v[20:21], s[16:17], -v[48:49]
	v_add_f64 v[72:73], v[189:190], v[72:73]
	v_add_f64 v[42:43], v[42:43], v[181:182]
	;; [unrolled: 1-line block ×8, first 2 shown]
	v_lshl_add_u32 v20, v130, 3, 0
	v_add_u32_e32 v21, 0x2000, v20
	ds_write2_b64 v21, v[52:53], v[28:29] offset0:98 offset1:149
	ds_write2_b64 v21, v[16:17], v[24:25] offset0:200 offset1:251
	v_add_u32_e32 v16, 0x2800, v20
	v_add_u32_e32 v17, 0x2c00, v20
	v_add_f64 v[169:170], v[44:45], v[72:73]
	v_add_f64 v[175:176], v[50:51], v[42:43]
	ds_write2_b64 v16, v[26:27], v[40:41] offset0:46 offset1:97
	ds_write2_b64 v16, v[0:1], v[38:39] offset0:148 offset1:199
	;; [unrolled: 1-line block ×3, first 2 shown]
	ds_write_b64 v20, v[22:23] offset:13056
	s_waitcnt lgkmcnt(0)
	; wave barrier
	s_waitcnt lgkmcnt(0)
	ds_read2_b64 v[32:35], v133 offset1:51
	ds_read2_b64 v[38:41], v145 offset0:126 offset1:177
	ds_read2_b64 v[42:45], v150 offset0:98 offset1:149
	;; [unrolled: 1-line block ×15, first 2 shown]
	ds_read_b64 v[4:5], v133 offset:13056
	s_waitcnt lgkmcnt(0)
	; wave barrier
	s_waitcnt lgkmcnt(0)
	ds_write2_b64 v133, v[6:7], v[74:75] offset1:51
	ds_write2_b64 v133, v[76:77], v[84:85] offset0:102 offset1:153
	ds_write2_b64 v133, v[88:89], v[92:93] offset0:204 offset1:255
	;; [unrolled: 1-line block ×15, first 2 shown]
	ds_write_b64 v20, v[179:180] offset:13056
	s_waitcnt lgkmcnt(0)
	; wave barrier
	s_waitcnt lgkmcnt(0)
	s_and_saveexec_b64 s[6:7], vcc
	s_cbranch_execz .LBB0_19
; %bb.18:
	v_lshlrev_b32_e32 v90, 1, v134
	v_mov_b32_e32 v91, 0
	v_lshlrev_b64 v[6:7], 4, v[90:91]
	v_mov_b32_e32 v104, s9
	v_add_co_u32_e32 v6, vcc, s8, v6
	v_addc_co_u32_e32 v7, vcc, v104, v7, vcc
	v_add_co_u32_e32 v10, vcc, 0x2200, v6
	v_addc_co_u32_e32 v11, vcc, 0, v7, vcc
	;; [unrolled: 2-line block ×3, first 2 shown]
	global_load_dwordx4 v[6:9], v[20:21], off offset:512
	global_load_dwordx4 v[16:19], v[10:11], off offset:16
	v_lshlrev_b32_e32 v90, 1, v135
	v_lshlrev_b64 v[10:11], 4, v[90:91]
	s_movk_i32 s6, 0x2200
	v_add_co_u32_e32 v20, vcc, s8, v10
	v_addc_co_u32_e32 v21, vcc, v104, v11, vcc
	v_add_co_u32_e32 v10, vcc, s6, v20
	s_movk_i32 s7, 0x2000
	v_addc_co_u32_e32 v11, vcc, 0, v21, vcc
	v_add_co_u32_e32 v36, vcc, s7, v20
	v_addc_co_u32_e32 v37, vcc, 0, v21, vcc
	global_load_dwordx4 v[20:23], v[36:37], off offset:512
	global_load_dwordx4 v[28:31], v[10:11], off offset:16
	v_lshlrev_b32_e32 v90, 1, v138
	v_lshlrev_b64 v[10:11], 4, v[90:91]
	v_add_u32_e32 v90, 0x2c00, v133
	v_add_co_u32_e32 v36, vcc, s8, v10
	v_addc_co_u32_e32 v37, vcc, v104, v11, vcc
	v_add_co_u32_e32 v10, vcc, s6, v36
	v_addc_co_u32_e32 v11, vcc, 0, v37, vcc
	;; [unrolled: 2-line block ×3, first 2 shown]
	global_load_dwordx4 v[74:77], v[36:37], off offset:512
	global_load_dwordx4 v[82:85], v[10:11], off offset:16
	v_add_u32_e32 v36, 0x1c00, v133
	ds_read_b64 v[10:11], v133 offset:13056
	v_add_u32_e32 v37, 0xc00, v133
	v_add_u32_e32 v131, 0x800, v133
	ds_read2_b64 v[86:89], v36 offset0:124 offset1:175
	ds_read2_b64 v[92:95], v37 offset0:126 offset1:177
	;; [unrolled: 1-line block ×4, first 2 shown]
	v_lshlrev_b32_e32 v90, 1, v139
	v_lshlrev_b64 v[36:37], 4, v[90:91]
	v_lshlrev_b32_e32 v90, 1, v140
	v_lshlrev_b64 v[113:114], 4, v[90:91]
	v_add_co_u32_e32 v90, vcc, s8, v36
	v_addc_co_u32_e32 v116, vcc, v104, v37, vcc
	v_add_co_u32_e32 v36, vcc, s6, v90
	v_addc_co_u32_e32 v37, vcc, 0, v116, vcc
	;; [unrolled: 2-line block ×4, first 2 shown]
	global_load_dwordx4 v[113:116], v[115:116], off offset:512
	s_nop 0
	global_load_dwordx4 v[117:120], v[36:37], off offset:16
	v_add_u32_e32 v151, 0x1800, v133
	v_add_u32_e32 v152, 0x2800, v133
	v_add_u32_e32 v171, 0x2000, v133
	s_waitcnt vmcnt(7) lgkmcnt(3)
	v_mul_f64 v[121:122], v[6:7], v[88:89]
	s_waitcnt vmcnt(6)
	v_mul_f64 v[123:124], v[16:17], v[10:11]
	v_mul_f64 v[36:37], v[8:9], v[88:89]
	;; [unrolled: 1-line block ×3, first 2 shown]
	v_fma_f64 v[8:9], v[2:3], v[8:9], v[121:122]
	v_fma_f64 v[18:19], v[4:5], v[18:19], v[123:124]
	v_fma_f64 v[36:37], v[2:3], v[6:7], -v[36:37]
	v_fma_f64 v[16:17], v[4:5], v[16:17], -v[10:11]
	v_add_co_u32_e32 v121, vcc, s6, v90
	v_addc_co_u32_e32 v122, vcc, 0, v125, vcc
	v_add_co_u32_e32 v4, vcc, s7, v90
	s_waitcnt vmcnt(5)
	v_mul_f64 v[88:89], v[20:21], v[86:87]
	s_waitcnt vmcnt(4) lgkmcnt(1)
	v_mul_f64 v[123:124], v[28:29], v[107:108]
	v_add_f64 v[2:3], v[8:9], v[18:19]
	v_addc_co_u32_e32 v5, vcc, 0, v125, vcc
	v_mul_f64 v[6:7], v[22:23], v[86:87]
	v_mul_f64 v[10:11], v[30:31], v[107:108]
	v_add_f64 v[107:108], v[36:37], v[16:17]
	v_fma_f64 v[22:23], v[0:1], v[22:23], v[88:89]
	v_fma_f64 v[129:130], v[14:15], v[30:31], v[123:124]
	global_load_dwordx4 v[86:89], v[4:5], off offset:512
	s_nop 0
	global_load_dwordx4 v[121:124], v[121:122], off offset:16
	v_add_f64 v[4:5], v[8:9], v[92:93]
	v_add_f64 v[30:31], v[36:37], -v[16:17]
	v_fma_f64 v[125:126], v[2:3], -0.5, v[92:93]
	v_fma_f64 v[20:21], v[0:1], v[20:21], -v[6:7]
	v_fma_f64 v[92:93], v[14:15], v[28:29], -v[10:11]
	v_fma_f64 v[14:15], v[107:108], -0.5, v[38:39]
	v_add_f64 v[0:1], v[22:23], v[129:130]
	v_add_f64 v[8:9], v[8:9], -v[18:19]
	v_add_f64 v[10:11], v[18:19], v[4:5]
	v_add_f64 v[18:19], v[38:39], v[36:37]
	v_fma_f64 v[2:3], v[30:31], s[0:1], v[125:126]
	v_fma_f64 v[6:7], v[30:31], s[4:5], v[125:126]
	ds_read2_b64 v[28:31], v151 offset0:150 offset1:201
	v_lshlrev_b32_e32 v90, 1, v142
	s_waitcnt lgkmcnt(1)
	v_fma_f64 v[38:39], v[0:1], -0.5, v[111:112]
	v_fma_f64 v[0:1], v[8:9], s[4:5], v[14:15]
	v_fma_f64 v[4:5], v[8:9], s[0:1], v[14:15]
	v_add_f64 v[8:9], v[18:19], v[16:17]
	s_waitcnt vmcnt(5) lgkmcnt(0)
	v_mul_f64 v[16:17], v[74:75], v[30:31]
	s_waitcnt vmcnt(4)
	v_mul_f64 v[18:19], v[82:83], v[105:106]
	v_add_f64 v[107:108], v[20:21], v[92:93]
	v_add_f64 v[111:112], v[22:23], v[111:112]
	v_add_f64 v[145:146], v[22:23], -v[129:130]
	v_mul_f64 v[22:23], v[76:77], v[30:31]
	v_mul_f64 v[30:31], v[84:85], v[105:106]
	v_add_f64 v[36:37], v[20:21], -v[92:93]
	v_fma_f64 v[76:77], v[26:27], v[76:77], v[16:17]
	v_lshlrev_b64 v[16:17], 4, v[90:91]
	v_fma_f64 v[84:85], v[12:13], v[84:85], v[18:19]
	v_add_co_u32_e32 v18, vcc, s8, v16
	v_addc_co_u32_e32 v19, vcc, v104, v17, vcc
	v_add_co_u32_e32 v16, vcc, s6, v18
	v_addc_co_u32_e32 v17, vcc, 0, v19, vcc
	v_add_co_u32_e32 v18, vcc, s7, v18
	v_addc_co_u32_e32 v19, vcc, 0, v19, vcc
	v_fma_f64 v[136:137], v[107:108], -0.5, v[72:73]
	global_load_dwordx4 v[105:108], v[18:19], off offset:512
	global_load_dwordx4 v[125:128], v[16:17], off offset:16
	v_add_f64 v[20:21], v[72:73], v[20:21]
	v_fma_f64 v[72:73], v[26:27], v[74:75], -v[22:23]
	v_add_f64 v[26:27], v[76:77], v[84:85]
	v_fma_f64 v[14:15], v[36:37], s[0:1], v[38:39]
	v_fma_f64 v[18:19], v[36:37], s[4:5], v[38:39]
	ds_read2_b64 v[36:39], v152 offset0:148 offset1:199
	v_fma_f64 v[74:75], v[12:13], v[82:83], -v[30:31]
	v_add_f64 v[22:23], v[129:130], v[111:112]
	v_add_f64 v[20:21], v[20:21], v[92:93]
	s_waitcnt vmcnt(5)
	v_mul_f64 v[111:112], v[115:116], v[28:29]
	v_fma_f64 v[92:93], v[26:27], -0.5, v[109:110]
	s_waitcnt vmcnt(4) lgkmcnt(0)
	v_mul_f64 v[129:130], v[119:120], v[38:39]
	v_mul_f64 v[38:39], v[117:118], v[38:39]
	v_add_f64 v[109:110], v[76:77], v[109:110]
	v_add_f64 v[30:31], v[72:73], v[74:75]
	v_lshlrev_b32_e32 v90, 1, v141
	v_add_f64 v[82:83], v[72:73], -v[74:75]
	v_mul_f64 v[28:29], v[113:114], v[28:29]
	v_fma_f64 v[12:13], v[145:146], s[4:5], v[136:137]
	v_fma_f64 v[16:17], v[145:146], s[0:1], v[136:137]
	;; [unrolled: 1-line block ×3, first 2 shown]
	v_add_f64 v[38:39], v[84:85], v[109:110]
	v_lshlrev_b64 v[109:110], 4, v[90:91]
	v_fma_f64 v[145:146], v[24:25], v[113:114], -v[111:112]
	v_add_co_u32_e32 v90, vcc, s8, v109
	v_addc_co_u32_e32 v110, vcc, v104, v110, vcc
	v_add_co_u32_e32 v113, vcc, s6, v90
	v_addc_co_u32_e32 v114, vcc, 0, v110, vcc
	v_fma_f64 v[136:137], v[30:31], -0.5, v[70:71]
	v_add_f64 v[76:77], v[76:77], -v[84:85]
	v_add_co_u32_e32 v109, vcc, s7, v90
	v_addc_co_u32_e32 v110, vcc, 0, v110, vcc
	v_fma_f64 v[26:27], v[82:83], s[0:1], v[92:93]
	v_fma_f64 v[147:148], v[24:25], v[115:116], v[28:29]
	v_fma_f64 v[30:31], v[82:83], s[4:5], v[92:93]
	ds_read2_b64 v[82:85], v151 offset0:48 offset1:99
	global_load_dwordx4 v[109:112], v[109:110], off offset:512
	s_nop 0
	global_load_dwordx4 v[113:116], v[113:114], off offset:16
	v_fma_f64 v[24:25], v[76:77], s[4:5], v[136:137]
	v_fma_f64 v[28:29], v[76:77], s[0:1], v[136:137]
	s_waitcnt vmcnt(4)
	v_mul_f64 v[92:93], v[121:122], v[36:37]
	s_waitcnt lgkmcnt(0)
	v_mul_f64 v[76:77], v[86:87], v[84:85]
	v_fma_f64 v[129:130], v[56:57], v[117:118], -v[129:130]
	v_mul_f64 v[84:85], v[88:89], v[84:85]
	v_mul_f64 v[36:37], v[123:124], v[36:37]
	v_add_f64 v[56:57], v[70:71], v[72:73]
	v_add_f64 v[72:73], v[147:148], v[149:150]
	ds_read2_b64 v[117:120], v131 offset0:50 offset1:101
	v_fma_f64 v[92:93], v[54:55], v[123:124], v[92:93]
	v_fma_f64 v[88:89], v[98:99], v[88:89], v[76:77]
	v_add_f64 v[136:137], v[145:146], v[129:130]
	v_fma_f64 v[98:99], v[98:99], v[86:87], -v[84:85]
	v_fma_f64 v[161:162], v[54:55], v[121:122], -v[36:37]
	v_add_f64 v[36:37], v[56:57], v[74:75]
	v_add_f64 v[70:71], v[145:146], -v[129:130]
	s_waitcnt lgkmcnt(0)
	v_fma_f64 v[72:73], v[72:73], -0.5, v[119:120]
	v_add_f64 v[84:85], v[102:103], v[145:146]
	v_add_f64 v[74:75], v[88:89], v[92:93]
	v_fma_f64 v[123:124], v[136:137], -0.5, v[102:103]
	v_add_f64 v[136:137], v[147:148], -v[149:150]
	v_add_f64 v[102:103], v[98:99], v[161:162]
	v_add_f64 v[86:87], v[98:99], -v[161:162]
	v_lshlrev_b32_e32 v90, 1, v143
	v_fma_f64 v[56:57], v[70:71], s[0:1], v[72:73]
	v_fma_f64 v[72:73], v[70:71], s[4:5], v[72:73]
	v_fma_f64 v[145:146], v[74:75], -0.5, v[117:118]
	v_add_f64 v[74:75], v[84:85], v[129:130]
	v_fma_f64 v[54:55], v[136:137], s[4:5], v[123:124]
	v_fma_f64 v[70:71], v[136:137], s[0:1], v[123:124]
	v_fma_f64 v[102:103], v[102:103], -0.5, v[100:101]
	v_add_f64 v[136:137], v[88:89], -v[92:93]
	v_add_f64 v[117:118], v[88:89], v[117:118]
	v_add_f64 v[76:77], v[147:148], v[119:120]
	v_fma_f64 v[84:85], v[86:87], s[0:1], v[145:146]
	v_fma_f64 v[88:89], v[86:87], s[4:5], v[145:146]
	s_waitcnt vmcnt(3)
	v_mul_f64 v[145:146], v[107:108], v[82:83]
	v_mul_f64 v[123:124], v[105:106], v[82:83]
	ds_read2_b64 v[119:122], v152 offset0:46 offset1:97
	v_fma_f64 v[82:83], v[136:137], s[4:5], v[102:103]
	v_fma_f64 v[86:87], v[136:137], s[0:1], v[102:103]
	v_add_f64 v[136:137], v[100:101], v[98:99]
	v_lshlrev_b64 v[100:101], 4, v[90:91]
	s_waitcnt vmcnt(2) lgkmcnt(0)
	v_mul_f64 v[129:130], v[125:126], v[121:122]
	v_add_co_u32_e32 v90, vcc, s8, v100
	v_addc_co_u32_e32 v101, vcc, v104, v101, vcc
	v_fma_f64 v[165:166], v[96:97], v[105:106], -v[145:146]
	v_add_co_u32_e32 v105, vcc, s6, v90
	v_addc_co_u32_e32 v106, vcc, 0, v101, vcc
	v_add_co_u32_e32 v100, vcc, s7, v90
	v_addc_co_u32_e32 v101, vcc, 0, v101, vcc
	v_mul_f64 v[121:122], v[127:128], v[121:122]
	v_fma_f64 v[163:164], v[96:97], v[107:108], v[123:124]
	ds_read2_b64 v[96:99], v133 offset0:204 offset1:255
	global_load_dwordx4 v[100:103], v[100:101], off offset:512
	s_nop 0
	global_load_dwordx4 v[105:108], v[105:106], off offset:16
	v_lshlrev_b32_e32 v90, 1, v144
	v_add_f64 v[92:93], v[92:93], v[117:118]
	v_lshlrev_b64 v[117:118], 4, v[90:91]
	v_add_u32_e32 v131, 0x1000, v133
	v_add_co_u32_e32 v90, vcc, s8, v117
	v_fma_f64 v[169:170], v[80:81], v[125:126], -v[121:122]
	v_addc_co_u32_e32 v126, vcc, v104, v118, vcc
	v_add_co_u32_e32 v117, vcc, s6, v90
	v_addc_co_u32_e32 v118, vcc, 0, v126, vcc
	v_add_co_u32_e32 v125, vcc, s7, v90
	v_addc_co_u32_e32 v126, vcc, 0, v126, vcc
	v_fma_f64 v[129:130], v[80:81], v[127:128], v[129:130]
	ds_read2_b64 v[121:124], v131 offset0:202 offset1:253
	global_load_dwordx4 v[125:128], v[125:126], off offset:512
	s_nop 0
	global_load_dwordx4 v[145:148], v[117:118], off offset:16
	v_add_f64 v[76:77], v[149:150], v[76:77]
	s_waitcnt vmcnt(4)
	v_mul_f64 v[149:150], v[113:114], v[119:120]
	v_lshlrev_b32_e32 v90, 1, v132
	s_waitcnt lgkmcnt(0)
	v_mul_f64 v[117:118], v[109:110], v[123:124]
	v_mul_f64 v[123:124], v[111:112], v[123:124]
	;; [unrolled: 1-line block ×3, first 2 shown]
	v_add_f64 v[80:81], v[163:164], v[129:130]
	v_add_f64 v[167:168], v[165:166], -v[169:170]
	v_fma_f64 v[177:178], v[78:79], v[115:116], v[149:150]
	v_fma_f64 v[175:176], v[68:69], v[111:112], v[117:118]
	v_lshlrev_b64 v[111:112], 4, v[90:91]
	v_fma_f64 v[123:124], v[68:69], v[109:110], -v[123:124]
	v_add_co_u32_e32 v90, vcc, s8, v111
	v_addc_co_u32_e32 v116, vcc, v104, v112, vcc
	v_add_co_u32_e32 v111, vcc, s6, v90
	v_addc_co_u32_e32 v112, vcc, 0, v116, vcc
	v_add_co_u32_e32 v115, vcc, s7, v90
	v_addc_co_u32_e32 v116, vcc, 0, v116, vcc
	v_lshlrev_b32_e32 v90, 1, v172
	global_load_dwordx4 v[115:118], v[115:116], off offset:512
	s_nop 0
	global_load_dwordx4 v[149:152], v[111:112], off offset:16
	v_lshlrev_b64 v[90:91], 4, v[90:91]
	v_fma_f64 v[173:174], v[80:81], -0.5, v[98:99]
	v_add_co_u32_e32 v111, vcc, s8, v90
	v_addc_co_u32_e32 v104, vcc, v104, v91, vcc
	v_add_co_u32_e32 v90, vcc, s6, v111
	v_addc_co_u32_e32 v91, vcc, 0, v104, vcc
	;; [unrolled: 2-line block ×3, first 2 shown]
	global_load_dwordx4 v[153:156], v[111:112], off offset:512
	global_load_dwordx4 v[157:160], v[90:91], off offset:16
	v_add_f64 v[80:81], v[165:166], v[169:170]
	v_add_f64 v[98:99], v[163:164], v[98:99]
	v_fma_f64 v[113:114], v[78:79], v[113:114], -v[119:120]
	v_add_f64 v[68:69], v[175:176], v[177:178]
	v_add_f64 v[119:120], v[163:164], -v[129:130]
	v_fma_f64 v[111:112], v[167:168], s[4:5], v[173:174]
	v_add_f64 v[90:91], v[136:137], v[161:162]
	v_fma_f64 v[109:110], v[80:81], -0.5, v[64:65]
	v_add_f64 v[64:65], v[64:65], v[165:166]
	v_fma_f64 v[80:81], v[167:168], s[0:1], v[173:174]
	ds_read2_b64 v[165:168], v171 offset0:200 offset1:251
	v_add_f64 v[136:137], v[123:124], -v[113:114]
	v_fma_f64 v[173:174], v[68:69], -0.5, v[96:97]
	v_add_f64 v[163:164], v[129:130], v[98:99]
	v_add_f64 v[98:99], v[123:124], v[113:114]
	v_fma_f64 v[78:79], v[119:120], s[4:5], v[109:110]
	v_fma_f64 v[109:110], v[119:120], s[0:1], v[109:110]
	v_add_f64 v[161:162], v[64:65], v[169:170]
	s_waitcnt vmcnt(7)
	v_mul_f64 v[64:65], v[102:103], v[121:122]
	s_waitcnt vmcnt(6) lgkmcnt(0)
	v_mul_f64 v[119:120], v[107:108], v[167:168]
	v_mul_f64 v[121:122], v[100:101], v[121:122]
	v_mul_f64 v[129:130], v[105:106], v[167:168]
	v_fma_f64 v[68:69], v[136:137], s[0:1], v[173:174]
	v_fma_f64 v[167:168], v[98:99], -0.5, v[62:63]
	v_fma_f64 v[98:99], v[136:137], s[4:5], v[173:174]
	v_add_f64 v[96:97], v[175:176], v[96:97]
	v_fma_f64 v[136:137], v[66:67], v[100:101], -v[64:65]
	v_fma_f64 v[173:174], v[60:61], v[105:106], -v[119:120]
	v_fma_f64 v[104:105], v[66:67], v[102:103], v[121:122]
	ds_read2_b64 v[100:103], v131 offset0:100 offset1:151
	v_fma_f64 v[106:107], v[60:61], v[107:108], v[129:130]
	v_add_f64 v[119:120], v[62:63], v[123:124]
	v_add_f64 v[169:170], v[175:176], -v[177:178]
	ds_read2_b64 v[62:65], v133 offset0:102 offset1:153
	s_waitcnt vmcnt(5) lgkmcnt(1)
	v_mul_f64 v[121:122], v[125:126], v[102:103]
	s_waitcnt vmcnt(4)
	v_mul_f64 v[123:124], v[145:146], v[165:166]
	v_mul_f64 v[102:103], v[127:128], v[102:103]
	v_mul_f64 v[165:166], v[147:148], v[165:166]
	v_add_f64 v[129:130], v[104:105], v[106:107]
	v_add_f64 v[60:61], v[177:178], v[96:97]
	v_fma_f64 v[66:67], v[169:170], s[4:5], v[167:168]
	v_fma_f64 v[96:97], v[169:170], s[0:1], v[167:168]
	;; [unrolled: 1-line block ×4, first 2 shown]
	v_add_f64 v[169:170], v[136:137], v[173:174]
	v_fma_f64 v[177:178], v[52:53], v[125:126], -v[102:103]
	s_waitcnt lgkmcnt(0)
	v_fma_f64 v[121:122], v[129:130], -0.5, v[64:65]
	v_add_f64 v[64:65], v[104:105], v[64:65]
	v_fma_f64 v[145:146], v[58:59], v[145:146], -v[165:166]
	ds_read2_b64 v[127:130], v171 offset0:98 offset1:149
	v_add_f64 v[167:168], v[136:137], -v[173:174]
	v_add_f64 v[52:53], v[175:176], v[147:148]
	v_fma_f64 v[123:124], v[169:170], -0.5, v[48:49]
	v_add_f64 v[169:170], v[104:105], -v[106:107]
	v_add_f64 v[48:49], v[48:49], v[136:137]
	v_add_f64 v[125:126], v[106:107], v[64:65]
	v_add_f64 v[106:107], v[177:178], -v[145:146]
	v_add_f64 v[64:65], v[177:178], v[145:146]
	v_add_f64 v[58:59], v[119:120], v[113:114]
	v_fma_f64 v[52:53], v[52:53], -0.5, v[62:63]
	v_add_f64 v[62:63], v[175:176], v[62:63]
	v_fma_f64 v[102:103], v[169:170], s[4:5], v[123:124]
	v_fma_f64 v[119:120], v[169:170], s[0:1], v[123:124]
	v_add_f64 v[123:124], v[48:49], v[173:174]
	s_waitcnt vmcnt(3)
	v_mul_f64 v[113:114], v[115:116], v[100:101]
	s_waitcnt vmcnt(2) lgkmcnt(0)
	v_mul_f64 v[136:137], v[149:150], v[129:130]
	v_fma_f64 v[165:166], v[64:65], -0.5, v[46:47]
	v_fma_f64 v[64:65], v[106:107], s[0:1], v[52:53]
	v_fma_f64 v[48:49], v[106:107], s[4:5], v[52:53]
	v_mul_f64 v[100:101], v[117:118], v[100:101]
	v_mul_f64 v[106:107], v[151:152], v[129:130]
	v_fma_f64 v[104:105], v[167:168], s[0:1], v[121:122]
	v_fma_f64 v[121:122], v[167:168], s[4:5], v[121:122]
	v_add_f64 v[167:168], v[175:176], -v[147:148]
	v_fma_f64 v[117:118], v[50:51], v[117:118], v[113:114]
	v_fma_f64 v[129:130], v[44:45], v[151:152], v[136:137]
	v_add_f64 v[52:53], v[147:148], v[62:63]
	s_waitcnt vmcnt(1)
	v_mul_f64 v[136:137], v[153:154], v[94:95]
	s_waitcnt vmcnt(0)
	v_mul_f64 v[147:148], v[157:158], v[127:128]
	v_fma_f64 v[100:101], v[50:51], v[115:116], -v[100:101]
	v_fma_f64 v[44:45], v[44:45], v[149:150], -v[106:107]
	v_mul_f64 v[94:95], v[155:156], v[94:95]
	v_mul_f64 v[106:107], v[159:160], v[127:128]
	v_add_f64 v[50:51], v[117:118], v[129:130]
	v_add_f64 v[127:128], v[46:47], v[177:178]
	v_fma_f64 v[136:137], v[40:41], v[155:156], v[136:137]
	v_fma_f64 v[149:150], v[42:43], v[159:160], v[147:148]
	ds_read2_b64 v[113:116], v133 offset1:51
	v_add_f64 v[147:148], v[100:101], v[44:45]
	v_fma_f64 v[94:95], v[40:41], v[153:154], -v[94:95]
	v_fma_f64 v[106:107], v[42:43], v[157:158], -v[106:107]
	v_add_f64 v[151:152], v[100:101], -v[44:45]
	s_waitcnt lgkmcnt(0)
	v_fma_f64 v[155:156], v[50:51], -0.5, v[115:116]
	v_add_f64 v[50:51], v[127:128], v[145:146]
	v_add_f64 v[40:41], v[136:137], v[149:150]
	;; [unrolled: 1-line block ×3, first 2 shown]
	v_fma_f64 v[127:128], v[147:148], -0.5, v[34:35]
	v_add_f64 v[145:146], v[117:118], -v[129:130]
	v_add_f64 v[34:35], v[34:35], v[100:101]
	v_add_f64 v[157:158], v[94:95], v[106:107]
	v_fma_f64 v[42:43], v[151:152], s[0:1], v[155:156]
	v_fma_f64 v[117:118], v[151:152], s[4:5], v[155:156]
	v_fma_f64 v[153:154], v[40:41], -0.5, v[113:114]
	v_add_f64 v[129:130], v[129:130], v[115:116]
	v_add_f64 v[100:101], v[94:95], -v[106:107]
	v_fma_f64 v[40:41], v[145:146], s[4:5], v[127:128]
	v_fma_f64 v[115:116], v[145:146], s[0:1], v[127:128]
	v_add_f64 v[127:128], v[34:35], v[44:45]
	v_add_f64 v[34:35], v[136:137], v[113:114]
	v_fma_f64 v[44:45], v[157:158], -0.5, v[32:33]
	v_add_f64 v[113:114], v[136:137], -v[149:150]
	v_mad_u64_u32 v[136:137], s[6:7], s2, v172, 0
	v_add_f64 v[32:33], v[32:33], v[94:95]
	v_add_u32_e32 v94, 0x231, v172
	v_fma_f64 v[46:47], v[167:168], s[0:1], v[165:166]
	v_add_f64 v[155:156], v[149:150], v[34:35]
	v_mov_b32_e32 v34, v137
	v_fma_f64 v[145:146], v[113:114], s[4:5], v[44:45]
	v_fma_f64 v[149:150], v[113:114], s[0:1], v[44:45]
	buffer_load_dword v44, off, s[60:63], 0 ; 4-byte Folded Reload
	buffer_load_dword v45, off, s[60:63], 0 offset:4 ; 4-byte Folded Reload
	v_mad_u64_u32 v[34:35], s[6:7], s3, v172, v[34:35]
	v_fma_f64 v[147:148], v[100:101], s[0:1], v[153:154]
	v_fma_f64 v[151:152], v[100:101], s[4:5], v[153:154]
	v_mov_b32_e32 v137, v34
	v_mad_u64_u32 v[34:35], s[0:1], s2, v94, 0
	v_add_f64 v[153:154], v[32:33], v[106:107]
	v_mov_b32_e32 v33, s13
	v_mad_u64_u32 v[94:95], s[0:1], s3, v94, v[35:36]
	v_fma_f64 v[62:63], v[167:168], s[4:5], v[165:166]
	v_mov_b32_e32 v35, v94
	v_add_u32_e32 v94, 0x462, v172
	v_lshlrev_b64 v[34:35], 4, v[34:35]
	s_waitcnt vmcnt(1)
	v_add_co_u32_e32 v32, vcc, s12, v44
	s_waitcnt vmcnt(0)
	v_addc_co_u32_e32 v33, vcc, v33, v45, vcc
	v_lshlrev_b64 v[44:45], 4, v[136:137]
	v_add_co_u32_e32 v44, vcc, v32, v44
	v_addc_co_u32_e32 v45, vcc, v33, v45, vcc
	global_store_dwordx4 v[44:45], v[153:156], off
	v_mad_u64_u32 v[44:45], s[0:1], s2, v94, 0
	v_add_co_u32_e32 v34, vcc, v32, v34
	v_addc_co_u32_e32 v35, vcc, v33, v35, vcc
	global_store_dwordx4 v[34:35], v[149:152], off
	v_mov_b32_e32 v34, v45
	v_mad_u64_u32 v[34:35], s[0:1], s3, v94, v[34:35]
	v_mad_u64_u32 v[94:95], s[0:1], s2, v132, 0
	v_mov_b32_e32 v45, v34
	v_lshlrev_b64 v[34:35], 4, v[44:45]
	v_mov_b32_e32 v44, v95
	v_mad_u64_u32 v[44:45], s[4:5], s3, v132, v[44:45]
	v_add_co_u32_e32 v34, vcc, v32, v34
	v_addc_co_u32_e32 v35, vcc, v33, v35, vcc
	v_mov_b32_e32 v95, v44
	global_store_dwordx4 v[34:35], v[145:148], off
	v_lshlrev_b64 v[34:35], 4, v[94:95]
	v_add_u32_e32 v94, 0x264, v172
	v_mad_u64_u32 v[44:45], s[4:5], s2, v94, 0
	v_add_co_u32_e32 v34, vcc, v32, v34
	v_mad_u64_u32 v[94:95], s[4:5], s3, v94, v[45:46]
	v_add_u32_e32 v95, 0x495, v172
	v_mad_u64_u32 v[100:101], s[4:5], s2, v95, 0
	v_addc_co_u32_e32 v35, vcc, v33, v35, vcc
	v_mov_b32_e32 v45, v94
	global_store_dwordx4 v[34:35], v[127:130], off
	v_lshlrev_b64 v[34:35], 4, v[44:45]
	v_mov_b32_e32 v44, v101
	v_mad_u64_u32 v[44:45], s[4:5], s3, v95, v[44:45]
	v_add_co_u32_e32 v34, vcc, v32, v34
	v_mov_b32_e32 v101, v44
	v_mad_u64_u32 v[44:45], s[4:5], s2, v144, 0
	v_addc_co_u32_e32 v35, vcc, v33, v35, vcc
	v_mad_u64_u32 v[94:95], s[4:5], s3, v144, v[45:46]
	v_add_u32_e32 v95, 0x297, v172
	global_store_dwordx4 v[34:35], v[115:118], off
	v_lshlrev_b64 v[34:35], 4, v[100:101]
	v_mad_u64_u32 v[100:101], s[4:5], s2, v95, 0
	v_add_co_u32_e32 v34, vcc, v32, v34
	v_addc_co_u32_e32 v35, vcc, v33, v35, vcc
	global_store_dwordx4 v[34:35], v[40:43], off
	v_mov_b32_e32 v45, v94
	v_mov_b32_e32 v40, v101
	v_mad_u64_u32 v[40:41], s[4:5], s3, v95, v[40:41]
	v_add_u32_e32 v42, 0x4c8, v172
	v_lshlrev_b64 v[34:35], 4, v[44:45]
	v_mov_b32_e32 v101, v40
	v_mad_u64_u32 v[40:41], s[4:5], s2, v42, 0
	v_add_co_u32_e32 v34, vcc, v32, v34
	v_addc_co_u32_e32 v35, vcc, v33, v35, vcc
	v_mad_u64_u32 v[41:42], s[4:5], s3, v42, v[41:42]
	global_store_dwordx4 v[34:35], v[50:53], off
	v_lshlrev_b64 v[34:35], 4, v[100:101]
	v_mad_u64_u32 v[42:43], s[4:5], s2, v143, 0
	v_add_co_u32_e32 v34, vcc, v32, v34
	v_addc_co_u32_e32 v35, vcc, v33, v35, vcc
	global_store_dwordx4 v[34:35], v[46:49], off
	v_lshlrev_b64 v[34:35], 4, v[40:41]
	v_mov_b32_e32 v40, v43
	v_mad_u64_u32 v[40:41], s[4:5], s3, v143, v[40:41]
	v_add_co_u32_e32 v34, vcc, v32, v34
	v_addc_co_u32_e32 v35, vcc, v33, v35, vcc
	v_mov_b32_e32 v43, v40
	global_store_dwordx4 v[34:35], v[62:65], off
	v_lshlrev_b64 v[34:35], 4, v[42:43]
	v_add_u32_e32 v42, 0x2ca, v172
	v_mad_u64_u32 v[40:41], s[4:5], s2, v42, 0
	v_add_u32_e32 v44, 0x4fb, v172
	v_add_co_u32_e32 v34, vcc, v32, v34
	v_mad_u64_u32 v[41:42], s[4:5], s3, v42, v[41:42]
	v_mad_u64_u32 v[42:43], s[4:5], s2, v44, 0
	v_addc_co_u32_e32 v35, vcc, v33, v35, vcc
	global_store_dwordx4 v[34:35], v[123:126], off
	v_lshlrev_b64 v[34:35], 4, v[40:41]
	v_mov_b32_e32 v40, v43
	v_mad_u64_u32 v[40:41], s[4:5], s3, v44, v[40:41]
	v_add_co_u32_e32 v34, vcc, v32, v34
	v_mov_b32_e32 v43, v40
	v_mad_u64_u32 v[40:41], s[4:5], s2, v141, 0
	v_addc_co_u32_e32 v35, vcc, v33, v35, vcc
	global_store_dwordx4 v[34:35], v[119:122], off
	v_lshlrev_b64 v[34:35], 4, v[42:43]
	v_mad_u64_u32 v[41:42], s[4:5], s3, v141, v[41:42]
	v_add_u32_e32 v44, 0x2fd, v172
	v_mad_u64_u32 v[42:43], s[4:5], s2, v44, 0
	v_add_co_u32_e32 v34, vcc, v32, v34
	v_addc_co_u32_e32 v35, vcc, v33, v35, vcc
	global_store_dwordx4 v[34:35], v[102:105], off
	v_lshlrev_b64 v[34:35], 4, v[40:41]
	v_mov_b32_e32 v40, v43
	v_mad_u64_u32 v[40:41], s[4:5], s3, v44, v[40:41]
	v_add_co_u32_e32 v34, vcc, v32, v34
	v_addc_co_u32_e32 v35, vcc, v33, v35, vcc
	v_mov_b32_e32 v43, v40
	global_store_dwordx4 v[34:35], v[58:61], off
	v_lshlrev_b64 v[34:35], 4, v[42:43]
	v_add_u32_e32 v42, 0x52e, v172
	v_mad_u64_u32 v[40:41], s[4:5], s2, v42, 0
	v_add_co_u32_e32 v34, vcc, v32, v34
	v_mad_u64_u32 v[41:42], s[4:5], s3, v42, v[41:42]
	v_mad_u64_u32 v[42:43], s[4:5], s2, v142, 0
	v_addc_co_u32_e32 v35, vcc, v33, v35, vcc
	global_store_dwordx4 v[34:35], v[96:99], off
	v_lshlrev_b64 v[34:35], 4, v[40:41]
	v_mov_b32_e32 v40, v43
	v_mad_u64_u32 v[40:41], s[4:5], s3, v142, v[40:41]
	v_add_co_u32_e32 v34, vcc, v32, v34
	v_addc_co_u32_e32 v35, vcc, v33, v35, vcc
	v_mov_b32_e32 v43, v40
	global_store_dwordx4 v[34:35], v[66:69], off
	v_lshlrev_b64 v[34:35], 4, v[42:43]
	v_add_u32_e32 v42, 0x330, v172
	v_mad_u64_u32 v[40:41], s[4:5], s2, v42, 0
	v_add_u32_e32 v44, 0x561, v172
	v_add_co_u32_e32 v34, vcc, v32, v34
	v_mad_u64_u32 v[41:42], s[4:5], s3, v42, v[41:42]
	v_mad_u64_u32 v[42:43], s[4:5], s2, v44, 0
	v_addc_co_u32_e32 v35, vcc, v33, v35, vcc
	global_store_dwordx4 v[34:35], v[161:164], off
	v_lshlrev_b64 v[34:35], 4, v[40:41]
	v_mov_b32_e32 v40, v43
	v_mad_u64_u32 v[40:41], s[4:5], s3, v44, v[40:41]
	v_add_co_u32_e32 v34, vcc, v32, v34
	v_mov_b32_e32 v43, v40
	v_mad_u64_u32 v[40:41], s[4:5], s2, v140, 0
	v_addc_co_u32_e32 v35, vcc, v33, v35, vcc
	global_store_dwordx4 v[34:35], v[109:112], off
	v_lshlrev_b64 v[34:35], 4, v[42:43]
	v_mad_u64_u32 v[41:42], s[4:5], s3, v140, v[41:42]
	v_add_u32_e32 v44, 0x363, v172
	v_mad_u64_u32 v[42:43], s[4:5], s2, v44, 0
	v_add_co_u32_e32 v34, vcc, v32, v34
	v_addc_co_u32_e32 v35, vcc, v33, v35, vcc
	global_store_dwordx4 v[34:35], v[78:81], off
	v_lshlrev_b64 v[34:35], 4, v[40:41]
	v_mov_b32_e32 v40, v43
	v_mad_u64_u32 v[40:41], s[4:5], s3, v44, v[40:41]
	v_add_co_u32_e32 v34, vcc, v32, v34
	v_addc_co_u32_e32 v35, vcc, v33, v35, vcc
	v_mov_b32_e32 v43, v40
	global_store_dwordx4 v[34:35], v[90:93], off
	v_lshlrev_b64 v[34:35], 4, v[42:43]
	v_add_u32_e32 v42, 0x594, v172
	v_mad_u64_u32 v[40:41], s[4:5], s2, v42, 0
	v_add_co_u32_e32 v34, vcc, v32, v34
	v_mad_u64_u32 v[41:42], s[4:5], s3, v42, v[41:42]
	v_mad_u64_u32 v[42:43], s[4:5], s2, v139, 0
	v_addc_co_u32_e32 v35, vcc, v33, v35, vcc
	global_store_dwordx4 v[34:35], v[86:89], off
	v_lshlrev_b64 v[34:35], 4, v[40:41]
	v_mov_b32_e32 v40, v43
	v_mad_u64_u32 v[40:41], s[4:5], s3, v139, v[40:41]
	v_add_co_u32_e32 v34, vcc, v32, v34
	v_addc_co_u32_e32 v35, vcc, v33, v35, vcc
	v_mov_b32_e32 v43, v40
	global_store_dwordx4 v[34:35], v[82:85], off
	v_lshlrev_b64 v[34:35], 4, v[42:43]
	v_add_u32_e32 v42, 0x396, v172
	v_mad_u64_u32 v[40:41], s[4:5], s2, v42, 0
	v_add_u32_e32 v44, 0x5c7, v172
	v_add_co_u32_e32 v34, vcc, v32, v34
	v_mad_u64_u32 v[41:42], s[4:5], s3, v42, v[41:42]
	v_mad_u64_u32 v[42:43], s[4:5], s2, v44, 0
	v_addc_co_u32_e32 v35, vcc, v33, v35, vcc
	global_store_dwordx4 v[34:35], v[74:77], off
	v_lshlrev_b64 v[34:35], 4, v[40:41]
	v_mov_b32_e32 v40, v43
	v_mad_u64_u32 v[40:41], s[4:5], s3, v44, v[40:41]
	v_add_co_u32_e32 v34, vcc, v32, v34
	v_mov_b32_e32 v43, v40
	v_mad_u64_u32 v[40:41], s[4:5], s2, v138, 0
	v_addc_co_u32_e32 v35, vcc, v33, v35, vcc
	global_store_dwordx4 v[34:35], v[70:73], off
	v_lshlrev_b64 v[34:35], 4, v[42:43]
	v_mad_u64_u32 v[41:42], s[4:5], s3, v138, v[41:42]
	v_add_co_u32_e32 v34, vcc, v32, v34
	v_addc_co_u32_e32 v35, vcc, v33, v35, vcc
	v_add_u32_e32 v44, 0x3c9, v172
	v_mad_u64_u32 v[42:43], s[4:5], s2, v44, 0
	global_store_dwordx4 v[34:35], v[54:57], off
	v_lshlrev_b64 v[34:35], 4, v[40:41]
	v_mov_b32_e32 v40, v43
	v_add_co_u32_e32 v34, vcc, v32, v34
	v_addc_co_u32_e32 v35, vcc, v33, v35, vcc
	global_store_dwordx4 v[34:35], v[36:39], off
	v_mad_u64_u32 v[40:41], s[4:5], s3, v44, v[40:41]
	v_add_u32_e32 v38, 0x5fa, v172
	v_mad_u64_u32 v[36:37], s[4:5], s2, v38, 0
	v_mov_b32_e32 v43, v40
	s_mov_b32 s1, 0xd347a4bd
	v_mad_u64_u32 v[37:38], s[4:5], s3, v38, v[37:38]
	v_lshlrev_b64 v[34:35], 4, v[42:43]
	v_mul_hi_u32 v38, v135, s1
	v_add_co_u32_e32 v34, vcc, v32, v34
	v_addc_co_u32_e32 v35, vcc, v33, v35, vcc
	global_store_dwordx4 v[34:35], v[28:31], off
	s_movk_i32 s0, 0x462
	v_sub_u32_e32 v30, v135, v38
	v_lshrrev_b32_e32 v30, 1, v30
	v_add_u32_e32 v30, v30, v38
	v_lshrrev_b32_e32 v30, 9, v30
	v_lshlrev_b64 v[28:29], 4, v[36:37]
	v_mad_u32_u24 v37, v30, s0, v135
	v_mad_u64_u32 v[30:31], s[4:5], s2, v37, 0
	v_add_co_u32_e32 v28, vcc, v32, v28
	v_mad_u64_u32 v[34:35], s[4:5], s3, v37, v[31:32]
	v_addc_co_u32_e32 v29, vcc, v33, v29, vcc
	v_mov_b32_e32 v31, v34
	v_add_u32_e32 v38, 0x231, v37
	global_store_dwordx4 v[28:29], v[24:27], off
	v_mad_u64_u32 v[35:36], s[4:5], s2, v38, 0
	v_lshlrev_b64 v[24:25], 4, v[30:31]
	v_add_co_u32_e32 v24, vcc, v32, v24
	v_addc_co_u32_e32 v25, vcc, v33, v25, vcc
	global_store_dwordx4 v[24:25], v[20:23], off
	v_add_u32_e32 v24, 0x462, v37
	v_mov_b32_e32 v26, v36
	v_mad_u64_u32 v[22:23], s[4:5], s2, v24, 0
	v_mad_u64_u32 v[26:27], s[4:5], s3, v38, v[26:27]
	v_mul_hi_u32 v25, v134, s1
	v_mad_u64_u32 v[23:24], s[4:5], s3, v24, v[23:24]
	v_mov_b32_e32 v36, v26
	v_sub_u32_e32 v24, v134, v25
	v_lshlrev_b64 v[20:21], 4, v[35:36]
	v_lshrrev_b32_e32 v24, 1, v24
	v_add_u32_e32 v24, v24, v25
	v_add_co_u32_e32 v20, vcc, v32, v20
	v_lshrrev_b32_e32 v24, 9, v24
	v_addc_co_u32_e32 v21, vcc, v33, v21, vcc
	v_mad_u32_u24 v26, v24, s0, v134
	v_mad_u64_u32 v[24:25], s[0:1], s2, v26, 0
	global_store_dwordx4 v[20:21], v[16:19], off
	s_nop 0
	v_lshlrev_b64 v[16:17], 4, v[22:23]
	v_mov_b32_e32 v18, v25
	v_add_co_u32_e32 v16, vcc, v32, v16
	v_addc_co_u32_e32 v17, vcc, v33, v17, vcc
	global_store_dwordx4 v[16:17], v[12:15], off
	v_add_u32_e32 v16, 0x231, v26
	v_mad_u64_u32 v[18:19], s[0:1], s3, v26, v[18:19]
	v_mad_u64_u32 v[14:15], s[0:1], s2, v16, 0
	v_mov_b32_e32 v25, v18
	v_add_u32_e32 v18, 0x462, v26
	v_mad_u64_u32 v[15:16], s[0:1], s3, v16, v[15:16]
	v_lshlrev_b64 v[12:13], 4, v[24:25]
	v_mad_u64_u32 v[16:17], s[0:1], s2, v18, 0
	v_add_co_u32_e32 v12, vcc, v32, v12
	v_addc_co_u32_e32 v13, vcc, v33, v13, vcc
	global_store_dwordx4 v[12:13], v[8:11], off
	s_nop 0
	v_mov_b32_e32 v10, v17
	v_mad_u64_u32 v[10:11], s[0:1], s3, v18, v[10:11]
	v_lshlrev_b64 v[8:9], 4, v[14:15]
	v_add_co_u32_e32 v8, vcc, v32, v8
	v_addc_co_u32_e32 v9, vcc, v33, v9, vcc
	v_mov_b32_e32 v17, v10
	global_store_dwordx4 v[8:9], v[4:7], off
	s_nop 0
	v_lshlrev_b64 v[4:5], 4, v[16:17]
	v_add_co_u32_e32 v4, vcc, v32, v4
	v_addc_co_u32_e32 v5, vcc, v33, v5, vcc
	global_store_dwordx4 v[4:5], v[0:3], off
.LBB0_19:
	s_endpgm
	.section	.rodata,"a",@progbits
	.p2align	6, 0x0
	.amdhsa_kernel fft_rtc_fwd_len1683_factors_17_3_11_3_wgs_51_tpt_51_halfLds_dp_ip_CI_sbrr_dirReg
		.amdhsa_group_segment_fixed_size 0
		.amdhsa_private_segment_fixed_size 12
		.amdhsa_kernarg_size 88
		.amdhsa_user_sgpr_count 6
		.amdhsa_user_sgpr_private_segment_buffer 1
		.amdhsa_user_sgpr_dispatch_ptr 0
		.amdhsa_user_sgpr_queue_ptr 0
		.amdhsa_user_sgpr_kernarg_segment_ptr 1
		.amdhsa_user_sgpr_dispatch_id 0
		.amdhsa_user_sgpr_flat_scratch_init 0
		.amdhsa_user_sgpr_private_segment_size 0
		.amdhsa_uses_dynamic_stack 0
		.amdhsa_system_sgpr_private_segment_wavefront_offset 1
		.amdhsa_system_sgpr_workgroup_id_x 1
		.amdhsa_system_sgpr_workgroup_id_y 0
		.amdhsa_system_sgpr_workgroup_id_z 0
		.amdhsa_system_sgpr_workgroup_info 0
		.amdhsa_system_vgpr_workitem_id 0
		.amdhsa_next_free_vgpr 255
		.amdhsa_next_free_sgpr 64
		.amdhsa_reserve_vcc 1
		.amdhsa_reserve_flat_scratch 0
		.amdhsa_float_round_mode_32 0
		.amdhsa_float_round_mode_16_64 0
		.amdhsa_float_denorm_mode_32 3
		.amdhsa_float_denorm_mode_16_64 3
		.amdhsa_dx10_clamp 1
		.amdhsa_ieee_mode 1
		.amdhsa_fp16_overflow 0
		.amdhsa_exception_fp_ieee_invalid_op 0
		.amdhsa_exception_fp_denorm_src 0
		.amdhsa_exception_fp_ieee_div_zero 0
		.amdhsa_exception_fp_ieee_overflow 0
		.amdhsa_exception_fp_ieee_underflow 0
		.amdhsa_exception_fp_ieee_inexact 0
		.amdhsa_exception_int_div_zero 0
	.end_amdhsa_kernel
	.text
.Lfunc_end0:
	.size	fft_rtc_fwd_len1683_factors_17_3_11_3_wgs_51_tpt_51_halfLds_dp_ip_CI_sbrr_dirReg, .Lfunc_end0-fft_rtc_fwd_len1683_factors_17_3_11_3_wgs_51_tpt_51_halfLds_dp_ip_CI_sbrr_dirReg
                                        ; -- End function
	.section	.AMDGPU.csdata,"",@progbits
; Kernel info:
; codeLenInByte = 33032
; NumSgprs: 68
; NumVgprs: 255
; ScratchSize: 12
; MemoryBound: 1
; FloatMode: 240
; IeeeMode: 1
; LDSByteSize: 0 bytes/workgroup (compile time only)
; SGPRBlocks: 8
; VGPRBlocks: 63
; NumSGPRsForWavesPerEU: 68
; NumVGPRsForWavesPerEU: 255
; Occupancy: 1
; WaveLimiterHint : 1
; COMPUTE_PGM_RSRC2:SCRATCH_EN: 1
; COMPUTE_PGM_RSRC2:USER_SGPR: 6
; COMPUTE_PGM_RSRC2:TRAP_HANDLER: 0
; COMPUTE_PGM_RSRC2:TGID_X_EN: 1
; COMPUTE_PGM_RSRC2:TGID_Y_EN: 0
; COMPUTE_PGM_RSRC2:TGID_Z_EN: 0
; COMPUTE_PGM_RSRC2:TIDIG_COMP_CNT: 0
	.type	__hip_cuid_5d9457eac080657,@object ; @__hip_cuid_5d9457eac080657
	.section	.bss,"aw",@nobits
	.globl	__hip_cuid_5d9457eac080657
__hip_cuid_5d9457eac080657:
	.byte	0                               ; 0x0
	.size	__hip_cuid_5d9457eac080657, 1

	.ident	"AMD clang version 19.0.0git (https://github.com/RadeonOpenCompute/llvm-project roc-6.4.0 25133 c7fe45cf4b819c5991fe208aaa96edf142730f1d)"
	.section	".note.GNU-stack","",@progbits
	.addrsig
	.addrsig_sym __hip_cuid_5d9457eac080657
	.amdgpu_metadata
---
amdhsa.kernels:
  - .args:
      - .actual_access:  read_only
        .address_space:  global
        .offset:         0
        .size:           8
        .value_kind:     global_buffer
      - .offset:         8
        .size:           8
        .value_kind:     by_value
      - .actual_access:  read_only
        .address_space:  global
        .offset:         16
        .size:           8
        .value_kind:     global_buffer
      - .actual_access:  read_only
        .address_space:  global
        .offset:         24
        .size:           8
        .value_kind:     global_buffer
      - .offset:         32
        .size:           8
        .value_kind:     by_value
      - .actual_access:  read_only
        .address_space:  global
        .offset:         40
        .size:           8
        .value_kind:     global_buffer
      - .actual_access:  read_only
        .address_space:  global
        .offset:         48
        .size:           8
        .value_kind:     global_buffer
      - .offset:         56
        .size:           4
        .value_kind:     by_value
      - .actual_access:  read_only
        .address_space:  global
        .offset:         64
        .size:           8
        .value_kind:     global_buffer
      - .actual_access:  read_only
        .address_space:  global
        .offset:         72
        .size:           8
        .value_kind:     global_buffer
      - .address_space:  global
        .offset:         80
        .size:           8
        .value_kind:     global_buffer
    .group_segment_fixed_size: 0
    .kernarg_segment_align: 8
    .kernarg_segment_size: 88
    .language:       OpenCL C
    .language_version:
      - 2
      - 0
    .max_flat_workgroup_size: 51
    .name:           fft_rtc_fwd_len1683_factors_17_3_11_3_wgs_51_tpt_51_halfLds_dp_ip_CI_sbrr_dirReg
    .private_segment_fixed_size: 12
    .sgpr_count:     68
    .sgpr_spill_count: 0
    .symbol:         fft_rtc_fwd_len1683_factors_17_3_11_3_wgs_51_tpt_51_halfLds_dp_ip_CI_sbrr_dirReg.kd
    .uniform_work_group_size: 1
    .uses_dynamic_stack: false
    .vgpr_count:     255
    .vgpr_spill_count: 2
    .wavefront_size: 64
amdhsa.target:   amdgcn-amd-amdhsa--gfx906
amdhsa.version:
  - 1
  - 2
...

	.end_amdgpu_metadata
